;; amdgpu-corpus repo=vllm-project/vllm kind=triton arch=gfx90a opt=O3 lang=triton
	.amdgcn_target "amdgcn-amd-amdhsa--gfx90a"
	.amdhsa_code_object_version 5
	.text
	.globl	fused_moe_kernel                ; -- Begin function fused_moe_kernel
	.p2align	8
	.type	fused_moe_kernel,@function
fused_moe_kernel:                       ; @fused_moe_kernel
.Lfunc_begin0:
	.cfi_sections .debug_frame
	.cfi_startproc
; %bb.138:
	.file	1 "/root/src/amdgpu-assembly/repos/vllm-project__vllm/triton_aot_kernels" "fused_moe_aot.py"
	.loc	1 27 0 prologue_end             ; fused_moe_aot.py:27:0
	s_load_dwordx2 s[6:7], s[4:5], 0x0
	s_load_dwordx8 s[8:15], s[4:5], 0x8
	s_waitcnt lgkmcnt(0)
	s_branch .LBB0_0
	.loc	1 0 0 is_stmt 0                 ; :0:0
.Ltmp0:
	.p2align	8
; %bb.139:
.LBB0_0:
	s_load_dword s55, s[4:5], 0x50
	s_load_dword s0, s[4:5], 0x58
	s_mov_b64 s[36:37], s[10:11]
.Ltmp1:
	.loc	1 117 22 is_stmt 1              ; fused_moe_aot.py:117:22
	s_abs_i32 s10, s16
.Ltmp2:
	.file	2 "/root/.local/lib/python3.13/site-packages/triton/language" "standard.py"
	.loc	2 43 17                         ; standard.py:43:17 @[ fused_moe_aot.py:115:27 ]
	s_waitcnt lgkmcnt(0)
	s_add_i32 s1, s55, 63
	.loc	2 43 30 is_stmt 0               ; standard.py:43:30 @[ fused_moe_aot.py:115:27 ]
	s_ashr_i32 s2, s1, 31
	s_lshr_b32 s2, s2, 26
	s_add_i32 s1, s1, s2
	s_ashr_i32 s1, s1, 6
.Ltmp3:
	.loc	1 116 38 is_stmt 1              ; fused_moe_aot.py:116:38
	s_lshl_b32 s2, s1, 3
	.loc	1 117 22                        ; fused_moe_aot.py:117:22
	s_abs_i32 s1, s2
	v_cvt_f32_u32_e32 v1, s1
	s_sub_i32 s11, 0, s1
.Ltmp4:
	.loc	2 43 17                         ; standard.py:43:17 @[ fused_moe_aot.py:114:28 ]
	s_add_i32 s0, s0, 63
	.loc	2 43 30 is_stmt 0               ; standard.py:43:30 @[ fused_moe_aot.py:114:28 ]
	s_ashr_i32 s3, s0, 31
.Ltmp5:
	.loc	1 117 22 is_stmt 1              ; fused_moe_aot.py:117:22
	v_rcp_iflag_f32_e32 v1, v1
.Ltmp6:
	.loc	2 43 30                         ; standard.py:43:30 @[ fused_moe_aot.py:114:28 ]
	s_lshr_b32 s3, s3, 26
	s_add_i32 s0, s0, s3
.Ltmp7:
	.loc	1 117 22                        ; fused_moe_aot.py:117:22
	s_xor_b32 s3, s16, s2
	v_mul_f32_e32 v1, 0x4f7ffffe, v1
	v_cvt_u32_f32_e32 v1, v1
.Ltmp8:
	.loc	2 43 30                         ; standard.py:43:30 @[ fused_moe_aot.py:114:28 ]
	s_ashr_i32 s0, s0, 6
.Ltmp9:
	.loc	1 117 22                        ; fused_moe_aot.py:117:22
	s_ashr_i32 s3, s3, 31
	v_readfirstlane_b32 s12, v1
	s_mul_i32 s11, s11, s12
	s_mul_hi_u32 s11, s12, s11
	s_add_i32 s12, s12, s11
	s_mul_hi_u32 s11, s10, s12
	s_mul_i32 s12, s11, s1
	s_sub_i32 s10, s10, s12
	s_add_i32 s12, s11, 1
	s_sub_i32 s13, s10, s1
	s_cmp_ge_u32 s10, s1
	s_cselect_b32 s11, s12, s11
	s_cselect_b32 s10, s13, s10
	s_add_i32 s12, s11, 1
	s_cmp_ge_u32 s10, s1
	s_cselect_b32 s1, s12, s11
	s_xor_b32 s1, s1, s3
	s_sub_i32 s3, s1, s3
	.loc	1 118 29                        ; fused_moe_aot.py:118:29
	s_lshl_b32 s10, s3, 3
	.loc	1 119 35                        ; fused_moe_aot.py:119:35
	s_sub_i32 s0, s0, s10
	.loc	1 119 48 is_stmt 0              ; fused_moe_aot.py:119:48
	s_min_i32 s11, s0, 8
	.loc	1 121 40 is_stmt 1              ; fused_moe_aot.py:121:40
	s_abs_i32 s12, s11
	v_cvt_f32_u32_e32 v1, s12
	.loc	1 120 34                        ; fused_moe_aot.py:120:34
	s_mul_i32 s3, s3, s2
	s_sub_i32 s2, s16, s3
	.loc	1 121 40                        ; fused_moe_aot.py:121:40
	s_sub_i32 s16, 0, s12
	v_rcp_iflag_f32_e32 v1, v1
	s_abs_i32 s13, s2
	s_xor_b32 s3, s2, s11
	s_ashr_i32 s3, s3, 31
	v_mul_f32_e32 v1, 0x4f7ffffe, v1
	v_cvt_u32_f32_e32 v1, v1
	s_load_dwordx2 s[0:1], s[4:5], 0x48
	v_readfirstlane_b32 s17, v1
	s_mul_i32 s16, s16, s17
	s_mul_hi_u32 s16, s17, s16
	s_add_i32 s17, s17, s16
	s_mul_hi_u32 s16, s13, s17
	s_mul_i32 s17, s16, s12
	s_sub_i32 s13, s13, s17
	s_add_i32 s17, s16, 1
	s_sub_i32 s18, s13, s12
	s_cmp_ge_u32 s13, s12
	s_cselect_b32 s16, s17, s16
	s_cselect_b32 s13, s18, s13
	s_add_i32 s17, s16, 1
	s_cmp_ge_u32 s13, s12
	s_cselect_b32 s12, s17, s16
	s_xor_b32 s12, s12, s3
	s_sub_i32 s47, s12, s3
	.loc	1 130 37                        ; fused_moe_aot.py:130:37
	s_waitcnt lgkmcnt(0)
	s_load_dword s0, s[0:1], 0x0
	.loc	1 120 54                        ; fused_moe_aot.py:120:54
	s_mul_i32 s1, s47, s11
	s_sub_i32 s1, s2, s1
	.loc	1 120 27 is_stmt 0              ; fused_moe_aot.py:120:27
	s_add_i32 s10, s1, s10
	.loc	1 131 15 is_stmt 1              ; fused_moe_aot.py:131:15
	s_lshl_b32 s12, s10, 6
	.loc	1 131 31 is_stmt 0              ; fused_moe_aot.py:131:31
	s_waitcnt lgkmcnt(0)
	s_cmp_lt_i32 s12, s0
	s_cbranch_scc0 .LBB0_137
; %bb.1:
	.loc	1 0 31                          ; fused_moe_aot.py:0:31
	s_load_dwordx4 s[0:3], s[4:5], 0x38
	s_load_dword s16, s[4:5], 0x5c
	.loc	1 134 47 is_stmt 1              ; fused_moe_aot.py:134:47
	s_ashr_i32 s13, s12, 31
	.loc	1 135 52                        ; fused_moe_aot.py:135:52
	s_lshl_b64 s[12:13], s[12:13], 2
	.loc	1 129 24                        ; fused_moe_aot.py:129:24
	v_lshrrev_b32_e32 v53, 6, v0
	.loc	1 135 52                        ; fused_moe_aot.py:135:52
	s_waitcnt lgkmcnt(0)
	s_add_u32 s0, s0, s12
	.loc	1 129 24                        ; fused_moe_aot.py:129:24
	v_or_b32_e32 v2, 12, v53
	v_or_b32_e32 v3, 28, v53
	;; [unrolled: 1-line block ×4, first 2 shown]
	.loc	1 135 52                        ; fused_moe_aot.py:135:52
	s_addc_u32 s1, s1, s13
	v_lshlrev_b32_e32 v1, 2, v53
	v_accvgpr_write_b32 a1, v2
	v_lshlrev_b32_e32 v2, 2, v2
	v_accvgpr_write_b32 a3, v3
	v_lshlrev_b32_e32 v3, 2, v3
	v_accvgpr_write_b32 a5, v4
	v_lshlrev_b32_e32 v4, 2, v4
	v_accvgpr_write_b32 a7, v5
	v_lshlrev_b32_e32 v5, 2, v5
	.loc	1 135 29 is_stmt 0              ; fused_moe_aot.py:135:29
	global_load_dword v62, v1, s[0:1]
	global_load_dword v60, v1, s[0:1] offset:16
	global_load_dword v58, v1, s[0:1] offset:32
	global_load_dword v56, v2, s[0:1]
	global_load_dword v48, v3, s[0:1]
	global_load_dword v54, v1, s[0:1] offset:64
	global_load_dword v52, v1, s[0:1] offset:80
	;; [unrolled: 1-line block ×6, first 2 shown]
	global_load_dword v40, v4, s[0:1]
	global_load_dword v38, v1, s[0:1] offset:192
	global_load_dword v36, v1, s[0:1] offset:208
	global_load_dword v32, v5, s[0:1]
                                        ; kill: killed $vgpr4
                                        ; kill: killed $vgpr2
                                        ; kill: killed $vgpr5
                                        ; kill: killed $vgpr3
	global_load_dword v34, v1, s[0:1] offset:224
	.loc	1 148 43 is_stmt 1              ; fused_moe_aot.py:148:43
	s_ashr_i32 s11, s10, 31
	s_lshl_b64 s[10:11], s[10:11], 2
	s_add_u32 s2, s2, s10
	s_addc_u32 s3, s3, s11
	.loc	1 148 26 is_stmt 0              ; fused_moe_aot.py:148:26
	s_load_dword s42, s[2:3], 0x0
	s_load_dwordx2 s[10:11], s[4:5], 0x74
                                        ; implicit-def: $vgpr254 : SGPR spill to VGPR lane
	.loc	1 129 24 is_stmt 1              ; fused_moe_aot.py:129:24
	v_and_b32_e32 v2, 63, v0
	v_accvgpr_write_b32 a32, v2
	.loc	1 149 22                        ; fused_moe_aot.py:149:22
	s_waitcnt lgkmcnt(0)
	s_cmp_lg_u32 s42, -1
	.loc	1 146 30                        ; fused_moe_aot.py:146:30
	s_waitcnt vmcnt(15)
	v_cmp_gt_i32_e64 s[2:3], s16, v62
	v_writelane_b32 v254, s2, 0
	v_writelane_b32 v254, s3, 1
	s_waitcnt vmcnt(14)
	v_cmp_gt_i32_e64 s[2:3], s16, v60
	v_writelane_b32 v254, s2, 2
	v_writelane_b32 v254, s3, 3
	;; [unrolled: 4-line block ×7, first 2 shown]
	v_cmp_gt_i32_e64 s[2:3], s16, v48
	v_writelane_b32 v254, s2, 14
	v_writelane_b32 v254, s3, 15
	s_waitcnt vmcnt(7)
	v_cmp_gt_i32_e64 s[2:3], s16, v46
	v_writelane_b32 v254, s2, 16
	v_writelane_b32 v254, s3, 17
	s_waitcnt vmcnt(6)
	;; [unrolled: 4-line block ×7, first 2 shown]
	v_cmp_gt_i32_e64 s[2:3], s16, v34
	v_writelane_b32 v254, s2, 28
	v_writelane_b32 v254, s3, 29
	v_cmp_gt_i32_e64 s[2:3], s16, v32
	.loc	1 149 22                        ; fused_moe_aot.py:149:22
	v_writelane_b32 v254, s2, 30
	v_writelane_b32 v254, s3, 31
	s_cbranch_scc0 .LBB0_71
; %bb.2:
	.loc	1 129 24                        ; fused_moe_aot.py:129:24
	v_and_b32_e32 v2, 0x80, v0
	v_and_b32_e32 v3, 31, v0
	v_lshrrev_b32_e32 v1, 2, v2
	v_or_b32_e32 v1, v1, v3
	.loc	1 135 52                        ; fused_moe_aot.py:135:52
	v_lshlrev_b32_e32 v1, 2, v1
	.loc	1 135 29 is_stmt 0              ; fused_moe_aot.py:135:29
	global_load_dword v68, v1, s[0:1]
	.loc	1 167 81 is_stmt 1              ; fused_moe_aot.py:167:81
	s_abs_i32 s43, s55
	v_cvt_f32_u32_e32 v5, s43
	.loc	1 129 24                        ; fused_moe_aot.py:129:24
	v_and_b32_e32 v1, 32, v0
	v_lshrrev_b32_e32 v4, 1, v0
	v_lshrrev_b32_e32 v6, 3, v1
	.loc	1 167 81                        ; fused_moe_aot.py:167:81
	v_rcp_iflag_f32_e32 v5, v5
	.loc	1 129 24                        ; fused_moe_aot.py:129:24
	v_and_b32_e32 v4, 32, v4
	.loc	1 167 23                        ; fused_moe_aot.py:167:23
	s_lshl_b32 s48, s47, 6
	.loc	1 129 24                        ; fused_moe_aot.py:129:24
	v_or_b32_e32 v72, v6, v4
	.loc	1 167 81                        ; fused_moe_aot.py:167:81
	v_mul_f32_e32 v5, 0x4f7ffffe, v5
	v_cvt_u32_f32_e32 v5, v5
	.loc	1 129 24                        ; fused_moe_aot.py:129:24
	v_or_b32_e32 v8, 1, v72
	.loc	1 167 38                        ; fused_moe_aot.py:167:38
	v_or_b32_e32 v7, s48, v72
	v_accvgpr_write_b32 a64, v8
	v_or_b32_e32 v8, s48, v8
	.loc	1 167 81 is_stmt 0              ; fused_moe_aot.py:167:81
	v_sub_u32_e32 v23, 0, v7
	s_sub_i32 s0, 0, s43
	v_max_i32_e32 v7, v23, v7
	v_sub_u32_e32 v23, 0, v8
	.loc	1 129 24 is_stmt 1              ; fused_moe_aot.py:129:24
	v_or_b32_e32 v70, 2, v72
	.loc	1 167 81                        ; fused_moe_aot.py:167:81
	v_max_i32_e32 v8, v23, v8
	v_mul_lo_u32 v23, s0, v5
	.loc	1 129 24                        ; fused_moe_aot.py:129:24
	v_or_b32_e32 v10, 3, v72
	v_or_b32_e32 v24, 26, v72
	.loc	1 167 38                        ; fused_moe_aot.py:167:38
	v_or_b32_e32 v9, s48, v70
	.loc	1 167 81 is_stmt 0              ; fused_moe_aot.py:167:81
	v_mul_hi_u32 v23, v5, v23
	v_accvgpr_write_b32 a58, v10
	.loc	1 167 38                        ; fused_moe_aot.py:167:38
	v_or_b32_e32 v10, s48, v10
	v_accvgpr_write_b32 a36, v24
	v_or_b32_e32 v21, s48, v24
	.loc	1 167 81                        ; fused_moe_aot.py:167:81
	v_sub_u32_e32 v24, 0, v9
	v_add_u32_e32 v5, v5, v23
	v_sub_u32_e32 v25, 0, v10
	v_max_i32_e32 v9, v24, v9
	v_mul_hi_u32 v23, v7, v5
	v_max_i32_e32 v10, v25, v10
	v_mul_hi_u32 v24, v8, v5
	v_mul_hi_u32 v25, v9, v5
	v_mul_lo_u32 v23, v23, s43
	v_mul_lo_u32 v24, v24, s43
	;; [unrolled: 1-line block ×3, first 2 shown]
	v_sub_u32_e32 v7, v7, v23
	v_sub_u32_e32 v8, v8, v24
	;; [unrolled: 1-line block ×3, first 2 shown]
	v_subrev_u32_e32 v9, s43, v7
	v_cmp_le_u32_e32 vcc, s43, v7
	.loc	1 129 24 is_stmt 1              ; fused_moe_aot.py:129:24
	v_or_b32_e32 v26, 24, v72
	.loc	1 167 81                        ; fused_moe_aot.py:167:81
	v_subrev_u32_e32 v24, s43, v8
	v_cndmask_b32_e32 v9, v7, v9, vcc
	v_cmp_le_u32_e32 vcc, s43, v8
	v_writelane_b32 v254, s10, 32
	v_accvgpr_write_b32 a40, v26
	.loc	1 167 38 is_stmt 0              ; fused_moe_aot.py:167:38
	v_or_b32_e32 v19, s48, v26
	.loc	1 167 81                        ; fused_moe_aot.py:167:81
	v_mul_hi_u32 v26, v10, v5
	v_subrev_u32_e32 v25, s43, v23
	v_cndmask_b32_e32 v8, v8, v24, vcc
	v_cmp_le_u32_e32 vcc, s43, v23
	v_writelane_b32 v254, s11, 33
	v_cndmask_b32_e32 v7, v23, v25, vcc
	v_mul_lo_u32 v23, v26, s43
	.loc	1 129 24 is_stmt 1              ; fused_moe_aot.py:129:24
	v_or_b32_e32 v66, 8, v72
	.loc	1 167 81                        ; fused_moe_aot.py:167:81
	v_sub_u32_e32 v10, v10, v23
	.loc	1 167 38 is_stmt 0              ; fused_moe_aot.py:167:38
	v_or_b32_e32 v11, s48, v66
	.loc	1 167 81                        ; fused_moe_aot.py:167:81
	v_subrev_u32_e32 v23, s43, v10
	.loc	1 129 24 is_stmt 1              ; fused_moe_aot.py:129:24
	v_or_b32_e32 v12, 9, v72
	v_accvgpr_write_b32 a54, v12
	.loc	1 167 38                        ; fused_moe_aot.py:167:38
	v_or_b32_e32 v12, s48, v12
	.loc	1 129 24                        ; fused_moe_aot.py:129:24
	v_or_b32_e32 v64, 10, v72
	.loc	1 167 38                        ; fused_moe_aot.py:167:38
	v_or_b32_e32 v13, s48, v64
	.loc	1 129 24                        ; fused_moe_aot.py:129:24
	v_or_b32_e32 v14, 11, v72
	v_accvgpr_write_b32 a50, v14
	.loc	1 167 38                        ; fused_moe_aot.py:167:38
	v_or_b32_e32 v14, s48, v14
	.loc	1 129 24                        ; fused_moe_aot.py:129:24
	v_or_b32_e32 v30, 16, v72
	.loc	1 167 38                        ; fused_moe_aot.py:167:38
	v_or_b32_e32 v15, s48, v30
	.loc	1 129 24                        ; fused_moe_aot.py:129:24
	v_or_b32_e32 v16, 17, v72
	v_accvgpr_write_b32 a46, v16
	.loc	1 167 38                        ; fused_moe_aot.py:167:38
	v_or_b32_e32 v16, s48, v16
	.loc	1 129 24                        ; fused_moe_aot.py:129:24
	v_or_b32_e32 v28, 18, v72
	.loc	1 167 38                        ; fused_moe_aot.py:167:38
	v_or_b32_e32 v17, s48, v28
	.loc	1 146 30                        ; fused_moe_aot.py:146:30
	s_waitcnt vmcnt(0)
	v_cmp_gt_i32_e64 s[2:3], s16, v68
	.loc	1 167 81                        ; fused_moe_aot.py:167:81
	v_writelane_b32 v254, s2, 34
	v_writelane_b32 v254, s3, 35
	v_cmp_le_u32_e64 s[2:3], s43, v10
	v_cndmask_b32_e64 v10, v10, v23, s[2:3]
	v_sub_u32_e32 v23, 0, v11
	v_max_i32_e32 v11, v23, v11
	v_mul_hi_u32 v23, v11, v5
	v_mul_lo_u32 v23, v23, s43
	v_sub_u32_e32 v11, v11, v23
	v_subrev_u32_e32 v23, s43, v11
	v_cmp_le_u32_e64 s[12:13], s43, v11
	v_cndmask_b32_e64 v11, v11, v23, s[12:13]
	v_sub_u32_e32 v23, 0, v12
	v_max_i32_e32 v12, v23, v12
	v_mul_hi_u32 v23, v12, v5
	v_mul_lo_u32 v23, v23, s43
	v_sub_u32_e32 v12, v12, v23
	v_subrev_u32_e32 v23, s43, v12
	;; [unrolled: 8-line block ×6, first 2 shown]
	v_cmp_le_u32_e64 s[24:25], s43, v16
	v_cndmask_b32_e64 v16, v16, v23, s[24:25]
	v_sub_u32_e32 v23, 0, v17
	v_max_i32_e32 v17, v23, v17
	v_mul_hi_u32 v23, v17, v5
	v_mul_lo_u32 v23, v23, s43
	.loc	1 129 24                        ; fused_moe_aot.py:129:24
	v_or_b32_e32 v18, 19, v72
	.loc	1 167 81                        ; fused_moe_aot.py:167:81
	v_sub_u32_e32 v17, v17, v23
	v_accvgpr_write_b32 a42, v18
	.loc	1 167 38 is_stmt 0              ; fused_moe_aot.py:167:38
	v_or_b32_e32 v18, s48, v18
	.loc	1 167 81                        ; fused_moe_aot.py:167:81
	v_subrev_u32_e32 v23, s43, v17
	v_cmp_le_u32_e64 s[26:27], s43, v17
	v_cndmask_b32_e64 v17, v17, v23, s[26:27]
	v_sub_u32_e32 v23, 0, v18
	v_max_i32_e32 v18, v23, v18
	v_mul_hi_u32 v23, v18, v5
	v_mul_lo_u32 v23, v23, s43
	v_sub_u32_e32 v18, v18, v23
	v_subrev_u32_e32 v23, s43, v18
	v_cmp_le_u32_e64 s[28:29], s43, v18
	v_cndmask_b32_e64 v18, v18, v23, s[28:29]
	v_sub_u32_e32 v23, 0, v19
	v_max_i32_e32 v19, v23, v19
	v_mul_hi_u32 v23, v19, v5
	v_mul_lo_u32 v23, v23, s43
	.loc	1 129 24 is_stmt 1              ; fused_moe_aot.py:129:24
	v_or_b32_e32 v20, 25, v72
	.loc	1 167 81                        ; fused_moe_aot.py:167:81
	v_sub_u32_e32 v19, v19, v23
	v_accvgpr_write_b32 a38, v20
	.loc	1 167 38 is_stmt 0              ; fused_moe_aot.py:167:38
	v_or_b32_e32 v20, s48, v20
	.loc	1 167 81                        ; fused_moe_aot.py:167:81
	v_subrev_u32_e32 v23, s43, v19
	v_cmp_le_u32_e64 s[30:31], s43, v19
	v_cndmask_b32_e64 v19, v19, v23, s[30:31]
	v_sub_u32_e32 v23, 0, v20
	v_max_i32_e32 v20, v23, v20
	v_mul_hi_u32 v23, v20, v5
	v_mul_lo_u32 v23, v23, s43
	v_sub_u32_e32 v20, v20, v23
	v_subrev_u32_e32 v23, s43, v20
	v_cmp_le_u32_e64 s[34:35], s43, v20
	v_cndmask_b32_e64 v20, v20, v23, s[34:35]
	v_sub_u32_e32 v23, 0, v21
	v_max_i32_e32 v21, v23, v21
	v_mul_hi_u32 v23, v21, v5
	v_mul_lo_u32 v23, v23, s43
	.loc	1 129 24 is_stmt 1              ; fused_moe_aot.py:129:24
	v_or_b32_e32 v22, 27, v72
	.loc	1 167 81                        ; fused_moe_aot.py:167:81
	v_sub_u32_e32 v21, v21, v23
	v_accvgpr_write_b32 a34, v22
	.loc	1 167 38 is_stmt 0              ; fused_moe_aot.py:167:38
	v_or_b32_e32 v22, s48, v22
	.loc	1 167 81                        ; fused_moe_aot.py:167:81
	v_subrev_u32_e32 v23, s43, v21
	v_cmp_le_u32_e64 s[38:39], s43, v21
	v_cndmask_b32_e64 v21, v21, v23, s[38:39]
	v_sub_u32_e32 v23, 0, v22
	s_load_dword s33, s[4:5], 0x54
	v_max_i32_e32 v22, v23, v22
	v_mul_hi_u32 v23, v22, v5
	v_mul_lo_u32 v23, v23, s43
	v_sub_u32_e32 v22, v22, v23
	v_subrev_u32_e32 v23, s43, v22
	v_cmp_le_u32_e64 s[40:41], s43, v22
	v_cndmask_b32_e64 v22, v22, v23, s[40:41]
.Ltmp10:
	.loc	2 43 17 is_stmt 1               ; standard.py:43:17 @[ fused_moe_aot.py:215:33 ]
	s_waitcnt lgkmcnt(0)
	s_add_i32 s44, s33, 63
	s_mov_b32 s50, 0
	v_accvgpr_write_b32 a66, v72
	v_accvgpr_write_b32 a62, v70
	;; [unrolled: 1-line block ×6, first 2 shown]
.Ltmp11:
	.loc	1 167 81                        ; fused_moe_aot.py:167:81
	v_cmp_le_u32_e64 s[10:11], s43, v9
	v_cmp_le_u32_e64 s[0:1], s43, v8
	v_cmp_le_u32_e32 vcc, s43, v7
	v_cmp_le_u32_e64 s[2:3], s43, v10
	v_cmp_le_u32_e64 s[12:13], s43, v11
	;; [unrolled: 1-line block ×13, first 2 shown]
	.loc	1 215 22                        ; fused_moe_aot.py:215:22
	s_cmp_lt_i32 s44, 64
	v_mov_b32_e32 v135, 0
	v_mov_b32_e32 v134, 0
	;; [unrolled: 1-line block ×16, first 2 shown]
	s_cbranch_scc1 .LBB0_73
; %bb.3:                                ; %.lr.ph
	.loc	1 0 0 is_stmt 0                 ; fused_moe_aot.py:0
	v_subrev_u32_e32 v23, s43, v9
	v_cndmask_b32_e64 v9, v9, v23, s[10:11]
	s_bfe_i32 s10, s47, 0x10019
	v_xor_b32_e32 v9, s10, v9
	v_subrev_u32_e32 v23, s10, v9
	v_subrev_u32_e32 v9, s43, v8
	v_cndmask_b32_e64 v8, v8, v9, s[0:1]
	v_xor_b32_e32 v8, s10, v8
	v_subrev_u32_e32 v24, s10, v8
	v_subrev_u32_e32 v8, s43, v7
	v_cndmask_b32_e32 v7, v7, v8, vcc
	v_subrev_u32_e32 v8, s43, v10
	v_cndmask_b32_e64 v8, v10, v8, s[2:3]
	v_xor_b32_e32 v8, s10, v8
	v_subrev_u32_e32 v10, s10, v8
	v_subrev_u32_e32 v8, s43, v11
	v_cndmask_b32_e64 v8, v11, v8, s[12:13]
	v_xor_b32_e32 v8, s10, v8
	v_subrev_u32_e32 v11, s10, v8
	;; [unrolled: 4-line block ×11, first 2 shown]
	v_subrev_u32_e32 v8, s43, v21
	v_cndmask_b32_e64 v8, v21, v8, s[38:39]
	v_writelane_b32 v254, s36, 36
	v_xor_b32_e32 v8, s10, v8
	v_writelane_b32 v254, s37, 37
	s_load_dword s46, s[4:5], 0x8c
	s_load_dwordx4 s[56:59], s[4:5], 0x7c
	s_load_dword s45, s[4:5], 0x70
	s_load_dwordx2 s[36:37], s[4:5], 0x28
	v_subrev_u32_e32 v21, s10, v8
	v_subrev_u32_e32 v8, s43, v22
	v_cndmask_b32_e64 v8, v22, v8, s[40:41]
	v_xor_b32_e32 v8, s10, v8
	v_subrev_u32_e32 v22, s10, v8
	.loc	1 187 65 is_stmt 1              ; fused_moe_aot.py:187:65
	s_waitcnt lgkmcnt(0)
	v_mad_i64_i32 v[8:9], s[0:1], v68, s56, 0
	.loc	1 187 41 is_stmt 0              ; fused_moe_aot.py:187:41
	v_lshlrev_b64 v[8:9], 2, v[8:9]
	v_mov_b32_e32 v25, s15
	v_add_co_u32_e32 v8, vcc, s14, v8
	v_addc_co_u32_e32 v9, vcc, v25, v9, vcc
	v_accvgpr_write_b32 a9, v9
	.loc	1 188 34 is_stmt 1              ; fused_moe_aot.py:188:34
	v_ashrrev_i32_e32 v9, 31, v24
	.loc	1 0 0 is_stmt 0                 ; fused_moe_aot.py:0
	v_xor_b32_e32 v7, s10, v7
	v_accvgpr_write_b32 a68, v8
	.loc	1 188 34                        ; fused_moe_aot.py:188:34
	v_ashrrev_i32_e32 v8, 31, v23
	v_lshrrev_b32_e32 v9, 25, v9
	.loc	1 0 0                           ; fused_moe_aot.py:0
	v_subrev_u32_e32 v7, s10, v7
	.loc	1 188 34                        ; fused_moe_aot.py:188:34
	v_lshrrev_b32_e32 v8, 25, v8
	v_add_u32_e32 v9, v24, v9
	v_add_u32_e32 v8, v23, v8
	v_ashrrev_i32_e32 v23, 7, v9
	v_ashrrev_i32_e32 v9, 31, v7
	v_lshrrev_b32_e32 v9, 25, v9
	v_add_u32_e32 v7, v7, v9
	v_ashrrev_i32_e32 v9, 31, v10
	v_lshrrev_b32_e32 v9, 25, v9
	v_add_u32_e32 v24, v10, v9
	v_ashrrev_i32_e32 v9, 31, v11
	v_lshrrev_b32_e32 v9, 25, v9
	v_add_u32_e32 v26, v11, v9
	v_ashrrev_i32_e32 v9, 31, v12
	v_lshrrev_b32_e32 v9, 25, v9
	v_add_u32_e32 v28, v12, v9
	v_ashrrev_i32_e32 v9, 31, v13
	v_lshrrev_b32_e32 v9, 25, v9
	v_add_u32_e32 v30, v13, v9
	v_ashrrev_i32_e32 v9, 31, v14
	v_lshrrev_b32_e32 v9, 25, v9
	v_add_u32_e32 v14, v14, v9
	v_ashrrev_i32_e32 v9, 31, v15
	v_lshrrev_b32_e32 v9, 25, v9
	v_add_u32_e32 v15, v15, v9
	v_ashrrev_i32_e32 v9, 31, v16
	v_lshrrev_b32_e32 v9, 25, v9
	v_add_u32_e32 v16, v16, v9
	v_ashrrev_i32_e32 v9, 31, v17
	v_lshrrev_b32_e32 v9, 25, v9
	v_add_u32_e32 v17, v17, v9
	v_ashrrev_i32_e32 v9, 31, v18
	v_lshrrev_b32_e32 v9, 25, v9
	v_add_u32_e32 v18, v18, v9
	v_ashrrev_i32_e32 v9, 31, v19
	v_lshrrev_b32_e32 v9, 25, v9
	v_add_u32_e32 v19, v19, v9
	v_ashrrev_i32_e32 v9, 31, v20
	v_lshrrev_b32_e32 v9, 25, v9
	v_add_u32_e32 v20, v20, v9
	v_ashrrev_i32_e32 v9, 31, v21
	v_writelane_b32 v254, s47, 38
	v_lshrrev_b32_e32 v9, 25, v9
	v_add_u32_e32 v21, v21, v9
	v_ashrrev_i32_e32 v9, 31, v22
	.loc	1 190 44 is_stmt 1              ; fused_moe_aot.py:190:44
	s_mul_hi_i32 s1, s42, s58
	v_writelane_b32 v254, s56, 39
	s_mul_i32 s0, s42, s58
	.loc	1 188 34                        ; fused_moe_aot.py:188:34
	v_ashrrev_i32_e32 v8, 7, v8
	v_lshrrev_b32_e32 v9, 25, v9
	.loc	1 190 30                        ; fused_moe_aot.py:190:30
	s_lshl_b64 s[10:11], s[0:1], 2
	.loc	1 188 34                        ; fused_moe_aot.py:188:34
	v_add_u32_e32 v22, v22, v9
	s_load_dwordx4 s[0:3], s[4:5], 0x60
	.loc	1 190 30                        ; fused_moe_aot.py:190:30
	s_add_u32 s10, s36, s10
	.loc	1 190 68 is_stmt 0              ; fused_moe_aot.py:190:68
	v_mad_i64_i32 v[8:9], s[4:5], v8, s46, 0
	.loc	1 188 34 is_stmt 1              ; fused_moe_aot.py:188:34
	v_ashrrev_i32_e32 v7, 7, v7
	.loc	1 190 30                        ; fused_moe_aot.py:190:30
	s_addc_u32 s11, s37, s11
	.loc	1 190 57 is_stmt 0              ; fused_moe_aot.py:190:57
	v_lshlrev_b64 v[8:9], 2, v[8:9]
	.loc	1 190 68                        ; fused_moe_aot.py:190:68
	v_mad_i64_i32 v[10:11], s[4:5], v23, s46, 0
	v_mad_i64_i32 v[12:13], s[4:5], v7, s46, 0
	.loc	1 190 57                        ; fused_moe_aot.py:190:57
	v_mov_b32_e32 v7, s11
	v_add_co_u32_e32 v8, vcc, s10, v8
	v_accvgpr_write_b32 a70, v8
	v_addc_co_u32_e32 v7, vcc, v7, v9, vcc
	v_lshlrev_b64 v[8:9], 2, v[10:11]
	v_lshlrev_b32_e32 v11, 1, v0
	v_accvgpr_write_b32 a11, v7
	v_mov_b32_e32 v7, s11
	v_and_b32_e32 v11, 28, v11
	v_add_co_u32_e32 v98, vcc, s10, v8
	v_lshlrev_b32_e32 v10, 6, v3
	v_xor_b32_e32 v6, v11, v6
	v_lshlrev_b32_e32 v11, 4, v2
	v_addc_co_u32_e32 v7, vcc, v7, v9, vcc
	v_or3_b32 v10, v10, v11, v6
	v_accvgpr_write_b32 a13, v7
	v_lshlrev_b64 v[6:7], 2, v[12:13]
	v_mov_b32_e32 v8, s11
	v_add_co_u32_e32 v100, vcc, s10, v6
	.loc	1 188 34 is_stmt 1              ; fused_moe_aot.py:188:34
	v_ashrrev_i32_e32 v6, 7, v24
	.loc	1 190 57                        ; fused_moe_aot.py:190:57
	v_addc_co_u32_e32 v23, vcc, v8, v7, vcc
	.loc	1 190 68 is_stmt 0              ; fused_moe_aot.py:190:68
	v_mad_i64_i32 v[6:7], s[4:5], v6, s46, 0
	.loc	1 190 57                        ; fused_moe_aot.py:190:57
	v_lshlrev_b64 v[6:7], 2, v[6:7]
	v_add_co_u32_e32 v102, vcc, s10, v6
	.loc	1 188 34 is_stmt 1              ; fused_moe_aot.py:188:34
	v_ashrrev_i32_e32 v6, 7, v26
	.loc	1 190 57                        ; fused_moe_aot.py:190:57
	v_addc_co_u32_e32 v25, vcc, v8, v7, vcc
	.loc	1 190 68 is_stmt 0              ; fused_moe_aot.py:190:68
	v_mad_i64_i32 v[6:7], s[4:5], v6, s46, 0
	.loc	1 190 57                        ; fused_moe_aot.py:190:57
	v_lshlrev_b64 v[6:7], 2, v[6:7]
	;; [unrolled: 9-line block ×13, first 2 shown]
	v_add_co_u32_e32 v128, vcc, s10, v6
	v_addc_co_u32_e32 v49, vcc, v8, v7, vcc
	v_accvgpr_read_b32 v8, a32
	.loc	1 215 22 is_stmt 1              ; fused_moe_aot.py:215:22
	v_add3_u32 v3, 0, v4, v3
	.loc	1 167 38                        ; fused_moe_aot.py:167:38
	v_or_b32_e32 v4, s48, v8
	.loc	1 167 81 is_stmt 0              ; fused_moe_aot.py:167:81
	v_sub_u32_e32 v6, 0, v4
	v_max_i32_e32 v4, v6, v4
	v_mul_hi_u32 v5, v4, v5
	v_mul_lo_u32 v5, v5, s43
.Ltmp12:
	.loc	2 43 30 is_stmt 1               ; standard.py:43:30 @[ fused_moe_aot.py:215:33 ]
	s_ashr_i32 s4, s44, 31
.Ltmp13:
	.loc	1 167 81                        ; fused_moe_aot.py:167:81
	v_sub_u32_e32 v4, v4, v5
.Ltmp14:
	.loc	2 43 30                         ; standard.py:43:30 @[ fused_moe_aot.py:215:33 ]
	s_lshr_b32 s4, s4, 26
.Ltmp15:
	.loc	1 167 81                        ; fused_moe_aot.py:167:81
	v_subrev_u32_e32 v5, s43, v4
	v_cmp_le_u32_e32 vcc, s43, v4
.Ltmp16:
	.loc	2 43 30                         ; standard.py:43:30 @[ fused_moe_aot.py:215:33 ]
	s_add_i32 s44, s44, s4
.Ltmp17:
	.loc	1 167 81                        ; fused_moe_aot.py:167:81
	v_cndmask_b32_e32 v4, v4, v5, vcc
.Ltmp18:
	.loc	2 43 30                         ; standard.py:43:30 @[ fused_moe_aot.py:215:33 ]
	s_ashr_i32 s51, s44, 6
.Ltmp19:
	.loc	1 247 33                        ; fused_moe_aot.py:247:33
	s_waitcnt lgkmcnt(0)
	s_lshl_b32 s10, s3, 6
	.loc	1 246 33                        ; fused_moe_aot.py:246:33
	s_lshl_b32 s52, s1, 6
	.loc	1 175 24                        ; fused_moe_aot.py:175:24
	s_mul_hi_i32 s5, s42, s2
	s_mul_i32 s42, s42, s2
	.loc	1 167 81                        ; fused_moe_aot.py:167:81
	v_subrev_u32_e32 v5, s43, v4
	v_cmp_le_u32_e32 vcc, s43, v4
	.loc	1 175 10                        ; fused_moe_aot.py:175:10
	s_add_u32 s4, s8, s42
	.loc	1 167 81                        ; fused_moe_aot.py:167:81
	v_cndmask_b32_e32 v4, v4, v5, vcc
	.loc	1 175 10                        ; fused_moe_aot.py:175:10
	s_addc_u32 s5, s9, s5
	.loc	1 167 81                        ; fused_moe_aot.py:167:81
	s_ashr_i32 s2, s48, 31
	v_xor_b32_e32 v4, s2, v4
	v_subrev_u32_e32 v6, s2, v4
	.loc	1 176 11                        ; fused_moe_aot.py:176:11
	v_pk_mov_b32 v[4:5], s[4:5], s[4:5] op_sel:[0,1]
	v_mad_i64_i32 v[132:133], s[4:5], v6, s45, v[4:5]
	v_mov_b32_e32 v4, 0x84
	.loc	1 129 24                        ; fused_moe_aot.py:129:24
	v_cmp_eq_u32_e32 vcc, 0, v2
	v_cndmask_b32_e64 v2, v4, 0, vcc
	v_and_b32_e32 v4, 0x7f, v0
	v_lshlrev_b32_e32 v1, 3, v1
	v_xor_b32_e32 v4, v2, v4
	v_add_u32_e32 v63, v3, v1
	.loc	1 170 8                         ; fused_moe_aot.py:170:8
	v_pk_mov_b32 v[2:3], s[6:7], s[6:7] op_sel:[0,1]
	.loc	1 190 44                        ; fused_moe_aot.py:190:44
	v_writelane_b32 v254, s57, 40
	.loc	1 170 8                         ; fused_moe_aot.py:170:8
	v_mad_i64_i32 v[136:137], s[4:5], v32, s0, v[2:3]
	v_mad_i64_i32 v[138:139], s[4:5], v34, s0, v[2:3]
	;; [unrolled: 1-line block ×16, first 2 shown]
	v_xor_b32_e32 v1, 8, v4
	v_xor_b32_e32 v2, 16, v4
	;; [unrolled: 1-line block ×3, first 2 shown]
	.loc	1 190 44                        ; fused_moe_aot.py:190:44
	v_writelane_b32 v254, s58, 41
	v_add_u32_e32 v67, 0, v1
	v_add_u32_e32 v69, 0, v2
	;; [unrolled: 1-line block ×3, first 2 shown]
	v_xor_b32_e32 v1, 8, v10
	v_xor_b32_e32 v2, 16, v10
	;; [unrolled: 1-line block ×3, first 2 shown]
	v_writelane_b32 v254, s59, 42
	v_add_u32_e32 v65, 0, v4
	v_add_u32_e32 v75, 0, v1
	v_add_u32_e32 v77, 0, v2
	v_add_u32_e32 v79, 0, v3
	v_or_b32_e32 v1, 0x300, v0
	v_or_b32_e32 v2, 0x700, v0
	;; [unrolled: 1-line block ×4, first 2 shown]
	v_add_u32_e32 v81, 0, v0
	v_accvgpr_read_b32 v0, a7
	v_writelane_b32 v254, s48, 43
	s_ashr_i32 s0, s52, 31
	.loc	1 176 29                        ; fused_moe_aot.py:176:29
	v_mul_lo_u32 v168, s3, v0
	v_accvgpr_read_b32 v0, a5
	v_writelane_b32 v254, s0, 44
	v_mul_lo_u32 v170, s3, v0
	v_accvgpr_read_b32 v0, a3
	v_writelane_b32 v254, s10, 45
	s_ashr_i32 s0, s10, 31
	v_add_u32_e32 v73, 0, v10
	v_add_u32_e32 v83, 0, v1
	;; [unrolled: 1-line block ×5, first 2 shown]
	v_mov_b32_e32 v86, 0
	.loc	1 129 24                        ; fused_moe_aot.py:129:24
	v_or_b32_e32 v1, 4, v53
	v_or_b32_e32 v2, 8, v53
	v_or_b32_e32 v3, 16, v53
	v_or_b32_e32 v4, 20, v53
	v_or_b32_e32 v5, 24, v53
	v_or_b32_e32 v6, 32, v53
	v_or_b32_e32 v7, 36, v53
	v_or_b32_e32 v9, 40, v53
	v_or_b32_e32 v10, 48, v53
	v_or_b32_e32 v11, 52, v53
	v_or_b32_e32 v12, 56, v53
	.loc	1 176 29                        ; fused_moe_aot.py:176:29
	v_mul_lo_u32 v172, s3, v0
	v_accvgpr_read_b32 v0, a1
	.loc	1 170 69                        ; fused_moe_aot.py:170:69
	v_mul_lo_u32 v178, s1, v8
	v_accvgpr_write_b32 a60, v68
	v_accvgpr_write_b32 a0, v32
	;; [unrolled: 1-line block ×17, first 2 shown]
	s_movk_i32 s53, 0x7f
	v_writelane_b32 v254, s0, 46
	s_mov_b32 s54, 0x5040100
	v_mov_b32_e32 v87, v86
	v_mov_b32_e32 v88, v86
	;; [unrolled: 1-line block ×25, first 2 shown]
	.loc	1 176 29                        ; fused_moe_aot.py:176:29
	v_mul_lo_u32 v174, s3, v0
	v_mul_lo_u32 v176, s3, v53
	.loc	1 170 51                        ; fused_moe_aot.py:170:51
	v_ashrrev_i32_e32 v51, 31, v178
	v_accvgpr_write_b32 a35, v12
	.loc	1 215 22                        ; fused_moe_aot.py:215:22
	v_mul_lo_u32 v180, s3, v12
	v_accvgpr_write_b32 a33, v11
	v_mul_lo_u32 v182, s3, v11
	v_accvgpr_write_b32 a31, v10
	;; [unrolled: 2-line block ×10, first 2 shown]
	v_mul_lo_u32 v200, s3, v1
	s_branch .LBB0_5
.LBB0_4:                                ;   in Loop: Header=BB0_5 Depth=1
	.loc	1 0 22 is_stmt 0                ; fused_moe_aot.py:0:22
	s_or_b64 exec, exec, s[0:1]
	.loc	1 234 59 is_stmt 1              ; fused_moe_aot.py:234:59
	v_readlane_b32 s4, v254, 39
	v_readlane_b32 s7, v254, 42
	s_mul_i32 s0, s2, s7
	.loc	1 234 49 is_stmt 0              ; fused_moe_aot.py:234:49
	s_ashr_i32 s1, s0, 31
	s_lshl_b64 s[0:1], s[0:1], 2
	v_accvgpr_read_b32 v16, a70
	v_mov_b32_e32 v21, s1
	v_add_co_u32_e32 v16, vcc, s0, v16
	v_accvgpr_read_b32 v17, a11
	v_addc_co_u32_e32 v17, vcc, v17, v21, vcc
	v_add_co_u32_e32 v54, vcc, s0, v98
	v_accvgpr_read_b32 v19, a13
	v_addc_co_u32_e32 v55, vcc, v19, v21, vcc
	v_add_co_u32_e32 v56, vcc, s0, v100
	v_addc_co_u32_e32 v57, vcc, v23, v21, vcc
	v_add_co_u32_e32 v58, vcc, s0, v102
	;; [unrolled: 2-line block ×14, first 2 shown]
	v_addc_co_u32_e32 v21, vcc, v49, v21, vcc
	.loc	1 234 34                        ; fused_moe_aot.py:234:34
	global_load_dword v204, v[16:17], off
	global_load_dword v205, v[54:55], off
	;; [unrolled: 1-line block ×6, first 2 shown]
	s_nop 0
	global_load_dword v210, v[212:213], off
	global_load_dword v211, v[214:215], off
	s_nop 0
	global_load_dword v212, v[216:217], off
	global_load_dword v213, v[218:219], off
	;; [unrolled: 1-line block ×4, first 2 shown]
	s_nop 0
	global_load_dword v216, v[250:251], off
	global_load_dword v217, v[252:253], off
	;; [unrolled: 1-line block ×4, first 2 shown]
	.loc	1 219 12 is_stmt 1              ; fused_moe_aot.py:219:12
	v_lshlrev_b16_e32 v16, 7, v6
	v_and_b32_e32 v16, 0x3f80, v16
	v_and_b32_e32 v17, 0x7f, v6
	v_add_u16_e32 v16, 0x2000, v16
	v_cmp_ne_u16_e32 vcc, s53, v17
	v_cndmask_b32_e32 v16, v125, v16, vcc
	v_cmp_ne_u16_e32 vcc, 0, v17
	v_cndmask_b32_e32 v16, 0, v16, vcc
	;; [unrolled: 2-line block ×8, first 2 shown]
	v_cmp_ne_u16_e32 vcc, 7, v17
	v_lshlrev_b16_sdwa v18, v181, v6 dst_sel:DWORD dst_unused:UNUSED_PAD src0_sel:DWORD src1_sel:BYTE_3
	.loc	1 0 0 is_stmt 0                 ; fused_moe_aot.py:0
	v_lshrrev_b32_e32 v220, 8, v6
	.loc	1 219 12                        ; fused_moe_aot.py:219:12
	v_lshlrev_b16_e32 v221, 8, v6
	v_cndmask_b32_e32 v55, v177, v16, vcc
	v_lshlrev_b16_sdwa v101, v179, v6 dst_sel:DWORD dst_unused:UNUSED_PAD src0_sel:DWORD src1_sel:WORD_1
	v_lshlrev_b16_sdwa v16, v181, v6 dst_sel:DWORD dst_unused:UNUSED_PAD src0_sel:DWORD src1_sel:WORD_1
	v_and_b32_sdwa v17, v6, s53 dst_sel:DWORD dst_unused:UNUSED_PAD src0_sel:WORD_1 src1_sel:DWORD
	v_lshlrev_b16_sdwa v61, v179, v6 dst_sel:DWORD dst_unused:UNUSED_PAD src0_sel:DWORD src1_sel:BYTE_3
	v_and_b32_e32 v18, 0x3f80, v18
	v_and_b32_sdwa v6, v6, s53 dst_sel:DWORD dst_unused:UNUSED_PAD src0_sel:BYTE_3 src1_sel:DWORD
	v_and_b32_e32 v16, 0x3f80, v16
	v_add_u16_e32 v18, 0x2000, v18
	v_cmp_ne_u16_e32 vcc, s53, v6
	v_add_u16_e32 v16, 0x2000, v16
	v_cndmask_b32_e32 v18, v125, v18, vcc
	v_cmp_ne_u16_e32 vcc, s53, v17
	v_cndmask_b32_e32 v16, v125, v16, vcc
	v_cmp_ne_u16_e32 vcc, 0, v6
	;; [unrolled: 2-line block ×15, first 2 shown]
	.loc	1 0 0                           ; fused_moe_aot.py:0
	v_lshrrev_b32_e32 v222, 8, v4
	.loc	1 219 12                        ; fused_moe_aot.py:219:12
	v_cndmask_b32_e32 v16, v175, v16, vcc
	v_cmp_ne_u16_e32 vcc, 7, v6
	v_cndmask_b32_e32 v103, v177, v18, vcc
	v_cmp_ne_u16_e32 vcc, 7, v17
	v_lshlrev_b16_e32 v17, 7, v222
	v_lshlrev_b16_e32 v6, 7, v4
	v_and_b32_e32 v17, 0x3f80, v17
	v_and_b32_e32 v18, 0x7f, v222
	v_cndmask_b32_e32 v105, v177, v16, vcc
	v_and_b32_e32 v6, 0x3f80, v6
	v_and_b32_e32 v16, 0x7f, v4
	v_add_u16_e32 v17, 0x2000, v17
	v_cmp_ne_u16_e32 vcc, s53, v18
	v_add_u16_e32 v6, 0x2000, v6
	v_cndmask_b32_e32 v17, v125, v17, vcc
	v_cmp_ne_u16_e32 vcc, s53, v16
	v_cndmask_b32_e32 v6, v125, v6, vcc
	v_cmp_ne_u16_e32 vcc, 0, v18
	;; [unrolled: 2-line block ×15, first 2 shown]
	v_cmp_ne_u16_e64 s[94:95], 7, v18
	v_lshlrev_b16_sdwa v18, v181, v4 dst_sel:DWORD dst_unused:UNUSED_PAD src0_sel:DWORD src1_sel:BYTE_3
	v_lshlrev_b16_e32 v223, 8, v4
	v_cndmask_b32_e32 v44, v175, v6, vcc
	v_cmp_ne_u16_e64 s[10:11], 7, v16
	v_lshlrev_b16_sdwa v17, v179, v4 dst_sel:DWORD dst_unused:UNUSED_PAD src0_sel:DWORD src1_sel:WORD_1
	v_lshlrev_b16_sdwa v6, v181, v4 dst_sel:DWORD dst_unused:UNUSED_PAD src0_sel:DWORD src1_sel:WORD_1
	v_and_b32_sdwa v16, v4, s53 dst_sel:DWORD dst_unused:UNUSED_PAD src0_sel:WORD_1 src1_sel:DWORD
	v_lshlrev_b16_sdwa v84, v179, v4 dst_sel:DWORD dst_unused:UNUSED_PAD src0_sel:DWORD src1_sel:BYTE_3
	v_and_b32_e32 v18, 0x3f80, v18
	v_and_b32_sdwa v4, v4, s53 dst_sel:DWORD dst_unused:UNUSED_PAD src0_sel:BYTE_3 src1_sel:DWORD
	v_and_b32_e32 v6, 0x3f80, v6
	v_add_u16_e32 v18, 0x2000, v18
	v_cmp_ne_u16_e32 vcc, s53, v4
	v_add_u16_e32 v6, 0x2000, v6
	v_cndmask_b32_e32 v18, v125, v18, vcc
	v_cmp_ne_u16_e32 vcc, s53, v16
	v_cndmask_b32_e32 v6, v125, v6, vcc
	v_cmp_ne_u16_e32 vcc, 0, v4
	;; [unrolled: 2-line block ×13, first 2 shown]
	.loc	1 0 0                           ; fused_moe_aot.py:0
	v_lshrrev_b32_e32 v224, 8, v2
	.loc	1 219 12                        ; fused_moe_aot.py:219:12
	v_cndmask_b32_e32 v6, v173, v6, vcc
	v_cmp_ne_u16_e32 vcc, 6, v4
	.loc	1 234 59 is_stmt 1              ; fused_moe_aot.py:234:59
	v_readlane_b32 s6, v254, 41
	.loc	1 219 12                        ; fused_moe_aot.py:219:12
	v_cndmask_b32_e32 v57, v175, v18, vcc
	v_cmp_ne_u16_e32 vcc, 6, v16
	v_cmp_ne_u16_e64 s[12:13], 7, v16
	v_lshlrev_b16_e32 v16, 7, v224
	v_cmp_ne_u16_e64 s[6:7], 7, v4
	v_lshlrev_b16_e32 v4, 7, v2
	v_and_b32_e32 v16, 0x3f80, v16
	v_and_b32_e32 v18, 0x7f, v224
	v_cndmask_b32_e32 v59, v175, v6, vcc
	v_and_b32_e32 v4, 0x3f80, v4
	v_and_b32_e32 v6, 0x7f, v2
	v_add_u16_e32 v16, 0x2000, v16
	v_cmp_ne_u16_e32 vcc, s53, v18
	v_add_u16_e32 v4, 0x2000, v4
	v_cndmask_b32_e32 v16, v125, v16, vcc
	v_cmp_ne_u16_e32 vcc, s53, v6
	v_cndmask_b32_e32 v4, v125, v4, vcc
	v_cmp_ne_u16_e32 vcc, 0, v18
	;; [unrolled: 2-line block ×15, first 2 shown]
	v_lshlrev_b16_sdwa v16, v181, v2 dst_sel:DWORD dst_unused:UNUSED_PAD src0_sel:DWORD src1_sel:BYTE_3
	v_lshlrev_b16_e32 v225, 8, v2
	v_cndmask_b32_e32 v36, v175, v4, vcc
	v_cmp_ne_u16_e64 s[88:89], 7, v6
	v_lshlrev_b16_sdwa v34, v179, v2 dst_sel:DWORD dst_unused:UNUSED_PAD src0_sel:DWORD src1_sel:WORD_1
	v_lshlrev_b16_sdwa v4, v181, v2 dst_sel:DWORD dst_unused:UNUSED_PAD src0_sel:DWORD src1_sel:WORD_1
	v_and_b32_sdwa v6, v2, s53 dst_sel:DWORD dst_unused:UNUSED_PAD src0_sel:WORD_1 src1_sel:DWORD
	v_lshlrev_b16_sdwa v32, v179, v2 dst_sel:DWORD dst_unused:UNUSED_PAD src0_sel:DWORD src1_sel:BYTE_3
	v_and_b32_e32 v16, 0x3f80, v16
	v_and_b32_sdwa v2, v2, s53 dst_sel:DWORD dst_unused:UNUSED_PAD src0_sel:BYTE_3 src1_sel:DWORD
	v_and_b32_e32 v4, 0x3f80, v4
	v_add_u16_e32 v16, 0x2000, v16
	v_cmp_ne_u16_e32 vcc, s53, v2
	v_add_u16_e32 v4, 0x2000, v4
	v_cndmask_b32_e32 v16, v125, v16, vcc
	v_cmp_ne_u16_e32 vcc, s53, v6
	v_cndmask_b32_e32 v4, v125, v4, vcc
	v_cmp_ne_u16_e32 vcc, 0, v2
	v_cndmask_b32_e32 v16, 0, v16, vcc
	v_cmp_ne_u16_e32 vcc, 0, v6
	v_cndmask_b32_e32 v4, 0, v4, vcc
	v_cmp_ne_u16_e32 vcc, 1, v2
	v_cndmask_b32_e32 v16, v127, v16, vcc
	v_cmp_ne_u16_e32 vcc, 1, v6
	v_cndmask_b32_e32 v4, v127, v4, vcc
	v_cmp_ne_u16_e32 vcc, 2, v2
	v_cndmask_b32_e32 v16, v129, v16, vcc
	v_cmp_ne_u16_e32 vcc, 2, v6
	v_cndmask_b32_e32 v4, v129, v4, vcc
	v_cmp_ne_u16_e32 vcc, 3, v2
	v_cndmask_b32_e32 v16, v169, v16, vcc
	v_cmp_ne_u16_e32 vcc, 3, v6
	v_cndmask_b32_e32 v4, v169, v4, vcc
	v_cmp_ne_u16_e32 vcc, 4, v2
	v_cndmask_b32_e32 v16, v171, v16, vcc
	v_cmp_ne_u16_e32 vcc, 4, v6
	v_cndmask_b32_e32 v4, v171, v4, vcc
	v_cmp_ne_u16_e32 vcc, 5, v2
	v_cndmask_b32_e32 v16, v173, v16, vcc
	v_cmp_ne_u16_e32 vcc, 5, v6
	.loc	1 234 59                        ; fused_moe_aot.py:234:59
	v_readlane_b32 s5, v254, 40
	.loc	1 219 12                        ; fused_moe_aot.py:219:12
	v_cndmask_b32_e32 v4, v173, v4, vcc
	v_cmp_ne_u16_e32 vcc, 6, v2
	v_cndmask_b32_e32 v16, v175, v16, vcc
	v_cmp_ne_u16_e32 vcc, 6, v6
	v_cmp_ne_u16_e64 s[4:5], 7, v2
	v_lshlrev_b16_e32 v2, 7, v0
	v_cndmask_b32_e32 v46, v175, v4, vcc
	v_and_b32_e32 v2, 0x3f80, v2
	v_and_b32_e32 v4, 0x7f, v0
	v_add_u16_e32 v2, 0x2000, v2
	v_cmp_ne_u16_e32 vcc, s53, v4
	v_cndmask_b32_e32 v2, v125, v2, vcc
	v_cmp_ne_u16_e32 vcc, 0, v4
	v_cndmask_b32_e32 v2, 0, v2, vcc
	;; [unrolled: 2-line block ×6, first 2 shown]
	v_cmp_ne_u16_e32 vcc, 5, v4
	v_cmp_ne_u16_e64 s[2:3], 7, v6
	v_cndmask_b32_e32 v2, v173, v2, vcc
	v_cmp_ne_u16_e32 vcc, 6, v4
	v_lshlrev_b16_sdwa v6, v181, v0 dst_sel:DWORD dst_unused:UNUSED_PAD src0_sel:DWORD src1_sel:BYTE_3
	.loc	1 0 0 is_stmt 0                 ; fused_moe_aot.py:0
	v_lshrrev_b32_e32 v226, 8, v0
	.loc	1 219 12                        ; fused_moe_aot.py:219:12
	v_lshlrev_b16_e32 v227, 8, v0
	v_cndmask_b32_e32 v66, v175, v2, vcc
	v_cmp_ne_u16_e64 s[60:61], 7, v4
	v_lshlrev_b16_sdwa v74, v179, v0 dst_sel:DWORD dst_unused:UNUSED_PAD src0_sel:DWORD src1_sel:WORD_1
	v_lshlrev_b16_sdwa v2, v181, v0 dst_sel:DWORD dst_unused:UNUSED_PAD src0_sel:DWORD src1_sel:WORD_1
	v_and_b32_sdwa v4, v0, s53 dst_sel:DWORD dst_unused:UNUSED_PAD src0_sel:WORD_1 src1_sel:DWORD
	v_lshlrev_b16_sdwa v78, v179, v0 dst_sel:DWORD dst_unused:UNUSED_PAD src0_sel:DWORD src1_sel:BYTE_3
	v_and_b32_e32 v6, 0x3f80, v6
	v_and_b32_sdwa v0, v0, s53 dst_sel:DWORD dst_unused:UNUSED_PAD src0_sel:BYTE_3 src1_sel:DWORD
	v_and_b32_e32 v2, 0x3f80, v2
	v_add_u16_e32 v6, 0x2000, v6
	v_cmp_ne_u16_e32 vcc, s53, v0
	v_add_u16_e32 v2, 0x2000, v2
	v_cndmask_b32_e32 v6, v125, v6, vcc
	v_cmp_ne_u16_e32 vcc, s53, v4
	v_cndmask_b32_e32 v2, v125, v2, vcc
	v_cmp_ne_u16_e32 vcc, 0, v0
	;; [unrolled: 2-line block ×14, first 2 shown]
	.loc	1 0 0                           ; fused_moe_aot.py:0
	v_lshrrev_b32_e32 v241, 8, v7
	.loc	1 219 12                        ; fused_moe_aot.py:219:12
	v_cndmask_b32_e32 v26, v175, v6, vcc
	v_cmp_ne_u16_e32 vcc, 6, v4
	v_cndmask_b32_e32 v24, v175, v2, vcc
	v_lshlrev_b16_e32 v2, 7, v241
	v_cmp_ne_u16_e64 s[90:91], 7, v18
	v_cmp_ne_u16_e64 s[82:83], 7, v0
	v_lshlrev_b16_e32 v0, 7, v7
	v_and_b32_e32 v2, 0x3f80, v2
	v_and_b32_e32 v18, 0x7f, v241
	;; [unrolled: 1-line block ×4, first 2 shown]
	v_add_u16_e32 v2, 0x2000, v2
	v_cmp_ne_u16_e32 vcc, s53, v18
	v_add_u16_e32 v0, 0x2000, v0
	v_cndmask_b32_e32 v2, v125, v2, vcc
	v_cmp_ne_u16_e32 vcc, s53, v6
	v_cndmask_b32_e32 v0, v125, v0, vcc
	v_cmp_ne_u16_e32 vcc, 0, v18
	v_cndmask_b32_e32 v2, 0, v2, vcc
	v_cmp_ne_u16_e32 vcc, 0, v6
	v_cndmask_b32_e32 v0, 0, v0, vcc
	v_cmp_ne_u16_e32 vcc, 1, v18
	v_cndmask_b32_e32 v2, v127, v2, vcc
	v_cmp_ne_u16_e32 vcc, 1, v6
	v_cndmask_b32_e32 v0, v127, v0, vcc
	v_cmp_ne_u16_e32 vcc, 2, v18
	v_cndmask_b32_e32 v2, v129, v2, vcc
	v_cmp_ne_u16_e32 vcc, 2, v6
	v_cndmask_b32_e32 v0, v129, v0, vcc
	v_cmp_ne_u16_e32 vcc, 3, v18
	v_cndmask_b32_e32 v2, v169, v2, vcc
	v_cmp_ne_u16_e32 vcc, 3, v6
	v_cndmask_b32_e32 v0, v169, v0, vcc
	v_cmp_ne_u16_e32 vcc, 4, v18
	v_cndmask_b32_e32 v2, v171, v2, vcc
	v_cmp_ne_u16_e32 vcc, 4, v6
	v_cndmask_b32_e32 v0, v171, v0, vcc
	v_cmp_ne_u16_e32 vcc, 5, v18
	v_cndmask_b32_e32 v2, v173, v2, vcc
	v_cmp_ne_u16_e32 vcc, 5, v6
	v_cmp_ne_u16_e64 s[0:1], 7, v18
	v_cndmask_b32_e32 v0, v173, v0, vcc
	v_cmp_ne_u16_e32 vcc, 6, v18
	v_writelane_b32 v254, s0, 47
	v_lshlrev_b16_sdwa v19, v181, v7 dst_sel:DWORD dst_unused:UNUSED_PAD src0_sel:DWORD src1_sel:BYTE_3
	v_cmp_ne_u16_e64 s[80:81], 7, v4
	v_cndmask_b32_e32 v4, v175, v2, vcc
	v_cmp_ne_u16_e32 vcc, 6, v6
	v_writelane_b32 v254, s1, 48
	v_cmp_ne_u16_e64 s[0:1], 7, v6
	v_lshlrev_b16_sdwa v6, v181, v7 dst_sel:DWORD dst_unused:UNUSED_PAD src0_sel:DWORD src1_sel:WORD_1
	v_and_b32_e32 v19, 0x3f80, v19
	v_and_b32_sdwa v20, v7, s53 dst_sel:DWORD dst_unused:UNUSED_PAD src0_sel:BYTE_3 src1_sel:DWORD
	v_lshlrev_b16_e32 v245, 8, v7
	v_cndmask_b32_e32 v2, v175, v0, vcc
	v_lshlrev_b16_sdwa v0, v179, v7 dst_sel:DWORD dst_unused:UNUSED_PAD src0_sel:DWORD src1_sel:WORD_1
	v_and_b32_e32 v6, 0x3f80, v6
	v_and_b32_sdwa v18, v7, s53 dst_sel:DWORD dst_unused:UNUSED_PAD src0_sel:WORD_1 src1_sel:DWORD
	v_lshlrev_b16_sdwa v246, v179, v7 dst_sel:DWORD dst_unused:UNUSED_PAD src0_sel:DWORD src1_sel:BYTE_3
	v_add_u16_e32 v7, 0x2000, v19
	v_cmp_ne_u16_e32 vcc, s53, v20
	v_add_u16_e32 v6, 0x2000, v6
	v_cndmask_b32_e32 v7, v125, v7, vcc
	v_cmp_ne_u16_e32 vcc, s53, v18
	v_cndmask_b32_e32 v6, v125, v6, vcc
	v_cmp_ne_u16_e32 vcc, 0, v20
	;; [unrolled: 2-line block ×11, first 2 shown]
	v_writelane_b32 v254, s0, 49
	v_cndmask_b32_e32 v6, v171, v6, vcc
	v_cmp_ne_u16_e32 vcc, 5, v20
	.loc	1 0 0                           ; fused_moe_aot.py:0
	v_lshrrev_b32_e32 v242, 8, v5
	.loc	1 219 12                        ; fused_moe_aot.py:219:12
	v_writelane_b32 v254, s1, 50
	v_cndmask_b32_e32 v7, v173, v7, vcc
	v_cmp_ne_u16_e32 vcc, 5, v18
	v_cmp_ne_u16_e64 s[0:1], 7, v20
	v_cndmask_b32_e32 v6, v173, v6, vcc
	v_cmp_ne_u16_e32 vcc, 6, v20
	v_writelane_b32 v254, s0, 51
	v_lshlrev_b16_e32 v20, 7, v242
	v_cndmask_b32_e32 v7, v175, v7, vcc
	v_cmp_ne_u16_e32 vcc, 6, v18
	v_writelane_b32 v254, s1, 52
	v_cmp_ne_u16_e64 s[0:1], 7, v18
	v_lshlrev_b16_e32 v18, 7, v5
	v_and_b32_e32 v20, 0x3f80, v20
	v_and_b32_e32 v21, 0x7f, v242
	v_cndmask_b32_e32 v6, v175, v6, vcc
	v_and_b32_e32 v18, 0x3f80, v18
	v_and_b32_e32 v19, 0x7f, v5
	v_add_u16_e32 v20, 0x2000, v20
	v_cmp_ne_u16_e32 vcc, s53, v21
	v_add_u16_e32 v18, 0x2000, v18
	v_cndmask_b32_e32 v20, v125, v20, vcc
	v_cmp_ne_u16_e32 vcc, s53, v19
	v_cndmask_b32_e32 v18, v125, v18, vcc
	v_cmp_ne_u16_e32 vcc, 0, v21
	;; [unrolled: 2-line block ×13, first 2 shown]
	v_writelane_b32 v254, s0, 53
	v_cndmask_b32_e32 v18, v173, v18, vcc
	v_cmp_ne_u16_e32 vcc, 6, v21
	v_writelane_b32 v254, s1, 54
	v_cndmask_b32_e32 v56, v175, v20, vcc
	v_cmp_ne_u16_e32 vcc, 6, v19
	v_cmp_ne_u16_e64 s[0:1], 7, v21
	v_lshlrev_b16_sdwa v20, v181, v5 dst_sel:DWORD dst_unused:UNUSED_PAD src0_sel:DWORD src1_sel:BYTE_3
	v_cndmask_b32_e32 v54, v175, v18, vcc
	v_writelane_b32 v254, s0, 55
	v_lshlrev_b16_sdwa v18, v181, v5 dst_sel:DWORD dst_unused:UNUSED_PAD src0_sel:DWORD src1_sel:WORD_1
	v_and_b32_e32 v20, 0x3f80, v20
	v_and_b32_sdwa v21, v5, s53 dst_sel:DWORD dst_unused:UNUSED_PAD src0_sel:BYTE_3 src1_sel:DWORD
	v_lshlrev_b16_e32 v247, 8, v5
	v_writelane_b32 v254, s1, 56
	v_cmp_ne_u16_e64 s[0:1], 7, v19
	v_lshlrev_b16_sdwa v248, v179, v5 dst_sel:DWORD dst_unused:UNUSED_PAD src0_sel:DWORD src1_sel:WORD_1
	v_and_b32_e32 v18, 0x3f80, v18
	v_and_b32_sdwa v19, v5, s53 dst_sel:DWORD dst_unused:UNUSED_PAD src0_sel:WORD_1 src1_sel:DWORD
	v_lshlrev_b16_sdwa v249, v179, v5 dst_sel:DWORD dst_unused:UNUSED_PAD src0_sel:DWORD src1_sel:BYTE_3
	v_add_u16_e32 v5, 0x2000, v20
	v_cmp_ne_u16_e32 vcc, s53, v21
	v_add_u16_e32 v18, 0x2000, v18
	v_cndmask_b32_e32 v5, v125, v5, vcc
	v_cmp_ne_u16_e32 vcc, s53, v19
	v_cndmask_b32_e32 v18, v125, v18, vcc
	v_cmp_ne_u16_e32 vcc, 0, v21
	v_cndmask_b32_e32 v5, 0, v5, vcc
	v_cmp_ne_u16_e32 vcc, 0, v19
	v_cndmask_b32_e32 v18, 0, v18, vcc
	v_cmp_ne_u16_e32 vcc, 1, v21
	v_cndmask_b32_e32 v5, v127, v5, vcc
	v_cmp_ne_u16_e32 vcc, 1, v19
	v_cndmask_b32_e32 v18, v127, v18, vcc
	v_cmp_ne_u16_e32 vcc, 2, v21
	v_cndmask_b32_e32 v5, v129, v5, vcc
	v_cmp_ne_u16_e32 vcc, 2, v19
	v_cndmask_b32_e32 v18, v129, v18, vcc
	v_cmp_ne_u16_e32 vcc, 3, v21
	v_cndmask_b32_e32 v5, v169, v5, vcc
	v_cmp_ne_u16_e32 vcc, 3, v19
	v_cndmask_b32_e32 v18, v169, v18, vcc
	v_cmp_ne_u16_e32 vcc, 4, v21
	v_cndmask_b32_e32 v5, v171, v5, vcc
	v_cmp_ne_u16_e32 vcc, 4, v19
	v_cndmask_b32_e32 v18, v171, v18, vcc
	v_cmp_ne_u16_e32 vcc, 5, v21
	v_cndmask_b32_e32 v5, v173, v5, vcc
	v_cmp_ne_u16_e32 vcc, 5, v19
	.loc	1 0 0                           ; fused_moe_aot.py:0
	v_lshrrev_b32_e32 v243, 8, v3
	.loc	1 219 12                        ; fused_moe_aot.py:219:12
	v_writelane_b32 v254, s0, 57
	v_cndmask_b32_e32 v18, v173, v18, vcc
	v_cmp_ne_u16_e32 vcc, 6, v21
	v_writelane_b32 v254, s1, 58
	v_cndmask_b32_e32 v58, v175, v5, vcc
	v_cmp_ne_u16_e32 vcc, 6, v19
	v_cmp_ne_u16_e64 s[0:1], 7, v21
	v_lshlrev_b16_e32 v20, 7, v243
	v_cndmask_b32_e32 v5, v175, v18, vcc
	v_writelane_b32 v254, s0, 59
	v_lshlrev_b16_e32 v18, 7, v3
	v_and_b32_e32 v20, 0x3f80, v20
	v_and_b32_e32 v21, 0x7f, v243
	v_writelane_b32 v254, s1, 60
	v_cmp_ne_u16_e64 s[0:1], 7, v19
	v_and_b32_e32 v18, 0x3f80, v18
	v_and_b32_e32 v19, 0x7f, v3
	v_add_u16_e32 v20, 0x2000, v20
	v_cmp_ne_u16_e32 vcc, s53, v21
	v_add_u16_e32 v18, 0x2000, v18
	v_cndmask_b32_e32 v20, v125, v20, vcc
	v_cmp_ne_u16_e32 vcc, s53, v19
	v_cndmask_b32_e32 v18, v125, v18, vcc
	v_cmp_ne_u16_e32 vcc, 0, v21
	v_cndmask_b32_e32 v20, 0, v20, vcc
	v_cmp_ne_u16_e32 vcc, 0, v19
	v_cndmask_b32_e32 v18, 0, v18, vcc
	v_cmp_ne_u16_e32 vcc, 1, v21
	v_cndmask_b32_e32 v20, v127, v20, vcc
	v_cmp_ne_u16_e32 vcc, 1, v19
	v_cndmask_b32_e32 v18, v127, v18, vcc
	v_cmp_ne_u16_e32 vcc, 2, v21
	v_cndmask_b32_e32 v20, v129, v20, vcc
	v_cmp_ne_u16_e32 vcc, 2, v19
	v_cndmask_b32_e32 v18, v129, v18, vcc
	v_cmp_ne_u16_e32 vcc, 3, v21
	v_cndmask_b32_e32 v20, v169, v20, vcc
	v_cmp_ne_u16_e32 vcc, 3, v19
	v_cndmask_b32_e32 v18, v169, v18, vcc
	v_cmp_ne_u16_e32 vcc, 4, v21
	v_cndmask_b32_e32 v20, v171, v20, vcc
	v_cmp_ne_u16_e32 vcc, 4, v19
	v_cndmask_b32_e32 v18, v171, v18, vcc
	v_cmp_ne_u16_e32 vcc, 5, v21
	v_cndmask_b32_e32 v20, v173, v20, vcc
	v_cmp_ne_u16_e32 vcc, 5, v19
	v_writelane_b32 v254, s0, 61
	v_cndmask_b32_e32 v18, v173, v18, vcc
	v_cmp_ne_u16_e32 vcc, 6, v21
	v_writelane_b32 v254, s1, 62
	v_cndmask_b32_e32 v62, v175, v20, vcc
	v_cmp_ne_u16_e32 vcc, 6, v19
	v_cmp_ne_u16_e64 s[0:1], 7, v21
	v_lshlrev_b16_sdwa v20, v181, v3 dst_sel:DWORD dst_unused:UNUSED_PAD src0_sel:DWORD src1_sel:BYTE_3
	v_cndmask_b32_e32 v60, v175, v18, vcc
                                        ; implicit-def: $vgpr255 : SGPR spill to VGPR lane
	v_writelane_b32 v254, s0, 63
	v_lshlrev_b16_sdwa v18, v181, v3 dst_sel:DWORD dst_unused:UNUSED_PAD src0_sel:DWORD src1_sel:WORD_1
	v_and_b32_e32 v20, 0x3f80, v20
	v_and_b32_sdwa v21, v3, s53 dst_sel:DWORD dst_unused:UNUSED_PAD src0_sel:BYTE_3 src1_sel:DWORD
	v_lshlrev_b16_e32 v250, 8, v3
	v_writelane_b32 v255, s1, 0
	v_cmp_ne_u16_e64 s[0:1], 7, v19
	v_lshlrev_b16_sdwa v251, v179, v3 dst_sel:DWORD dst_unused:UNUSED_PAD src0_sel:DWORD src1_sel:WORD_1
	v_and_b32_e32 v18, 0x3f80, v18
	v_and_b32_sdwa v19, v3, s53 dst_sel:DWORD dst_unused:UNUSED_PAD src0_sel:WORD_1 src1_sel:DWORD
	v_lshlrev_b16_sdwa v252, v179, v3 dst_sel:DWORD dst_unused:UNUSED_PAD src0_sel:DWORD src1_sel:BYTE_3
	v_add_u16_e32 v3, 0x2000, v20
	v_cmp_ne_u16_e32 vcc, s53, v21
	v_add_u16_e32 v18, 0x2000, v18
	v_cndmask_b32_e32 v3, v125, v3, vcc
	v_cmp_ne_u16_e32 vcc, s53, v19
	v_cndmask_b32_e32 v18, v125, v18, vcc
	v_cmp_ne_u16_e32 vcc, 0, v21
	;; [unrolled: 2-line block ×13, first 2 shown]
	.loc	1 0 0                           ; fused_moe_aot.py:0
	v_lshrrev_b32_e32 v244, 8, v1
	.loc	1 219 12                        ; fused_moe_aot.py:219:12
	v_cndmask_b32_e32 v18, v173, v18, vcc
	v_cmp_ne_u16_e32 vcc, 6, v21
	v_cndmask_b32_e32 v3, v175, v3, vcc
	v_cmp_ne_u16_e32 vcc, 6, v19
	v_lshlrev_b16_e32 v20, 7, v244
	v_cndmask_b32_e32 v64, v175, v18, vcc
	v_cmp_ne_u16_e64 s[56:57], 7, v21
	v_lshlrev_b16_e32 v18, 7, v1
	v_and_b32_e32 v20, 0x3f80, v20
	v_and_b32_e32 v21, 0x7f, v244
	v_cmp_ne_u16_e64 s[58:59], 7, v19
	v_and_b32_e32 v18, 0x3f80, v18
	v_and_b32_e32 v19, 0x7f, v1
	v_add_u16_e32 v20, 0x2000, v20
	v_cmp_ne_u16_e32 vcc, s53, v21
	v_add_u16_e32 v18, 0x2000, v18
	v_cndmask_b32_e32 v20, v125, v20, vcc
	v_cmp_ne_u16_e32 vcc, s53, v19
	v_cndmask_b32_e32 v18, v125, v18, vcc
	v_cmp_ne_u16_e32 vcc, 0, v21
	;; [unrolled: 2-line block ×15, first 2 shown]
	v_lshlrev_b16_sdwa v20, v181, v1 dst_sel:DWORD dst_unused:UNUSED_PAD src0_sel:DWORD src1_sel:BYTE_3
	v_cndmask_b32_e32 v70, v175, v18, vcc
	v_cmp_ne_u16_e64 s[62:63], 7, v21
	v_lshlrev_b16_sdwa v18, v181, v1 dst_sel:DWORD dst_unused:UNUSED_PAD src0_sel:DWORD src1_sel:WORD_1
	v_and_b32_e32 v20, 0x3f80, v20
	v_and_b32_sdwa v21, v1, s53 dst_sel:DWORD dst_unused:UNUSED_PAD src0_sel:BYTE_3 src1_sel:DWORD
	v_lshlrev_b16_e32 v253, 8, v1
	v_cmp_ne_u16_e64 s[64:65], 7, v19
	v_lshlrev_b16_sdwa v50, v179, v1 dst_sel:DWORD dst_unused:UNUSED_PAD src0_sel:DWORD src1_sel:WORD_1
	v_and_b32_e32 v18, 0x3f80, v18
	v_and_b32_sdwa v19, v1, s53 dst_sel:DWORD dst_unused:UNUSED_PAD src0_sel:WORD_1 src1_sel:DWORD
	v_lshlrev_b16_sdwa v52, v179, v1 dst_sel:DWORD dst_unused:UNUSED_PAD src0_sel:DWORD src1_sel:BYTE_3
	v_add_u16_e32 v1, 0x2000, v20
	v_cmp_ne_u16_e32 vcc, s53, v21
	v_add_u16_e32 v18, 0x2000, v18
	v_cndmask_b32_e32 v1, v125, v1, vcc
	v_cmp_ne_u16_e32 vcc, s53, v19
	v_cndmask_b32_e32 v18, v125, v18, vcc
	v_cmp_ne_u16_e32 vcc, 0, v21
	;; [unrolled: 2-line block ×15, first 2 shown]
	.loc	1 223 20 is_stmt 1              ; fused_moe_aot.py:223:20
	s_waitcnt lgkmcnt(14)
	v_lshlrev_b16_e32 v20, 7, v240
	.loc	1 219 12                        ; fused_moe_aot.py:219:12
	v_cndmask_b32_e32 v72, v175, v18, vcc
	v_cmp_ne_u16_e64 s[66:67], 7, v21
	.loc	1 223 20                        ; fused_moe_aot.py:223:20
	v_lshlrev_b16_e32 v18, 7, v203
	v_and_b32_e32 v20, 0x3f80, v20
	v_and_b32_e32 v21, 0x7f, v240
	.loc	1 219 12                        ; fused_moe_aot.py:219:12
	v_cmp_ne_u16_e64 s[68:69], 7, v19
	.loc	1 223 20                        ; fused_moe_aot.py:223:20
	v_and_b32_e32 v18, 0x3f80, v18
	v_and_b32_e32 v19, 0x7f, v203
	v_add_u16_e32 v20, 0x2000, v20
	v_cmp_ne_u16_e32 vcc, s53, v21
	v_add_u16_e32 v18, 0x2000, v18
	v_cndmask_b32_e32 v20, v125, v20, vcc
	v_cmp_ne_u16_e32 vcc, s53, v19
	v_cndmask_b32_e32 v18, v125, v18, vcc
	v_cmp_ne_u16_e32 vcc, 0, v21
	;; [unrolled: 2-line block ×15, first 2 shown]
	v_lshlrev_b16_e32 v20, 7, v239
	v_cndmask_b32_e32 v40, v175, v18, vcc
	v_cmp_ne_u16_e64 s[70:71], 7, v21
	v_lshlrev_b16_e32 v18, 7, v238
	v_and_b32_e32 v20, 0x3f80, v20
	v_and_b32_e32 v21, 0x7f, v239
	v_cmp_ne_u16_e64 s[92:93], 7, v19
	v_and_b32_e32 v18, 0x3f80, v18
	v_and_b32_e32 v19, 0x7f, v238
	v_add_u16_e32 v20, 0x2000, v20
	v_cmp_ne_u16_e32 vcc, s53, v21
	v_add_u16_e32 v18, 0x2000, v18
	v_cndmask_b32_e32 v20, v125, v20, vcc
	v_cmp_ne_u16_e32 vcc, s53, v19
	v_cndmask_b32_e32 v18, v125, v18, vcc
	v_cmp_ne_u16_e32 vcc, 0, v21
	;; [unrolled: 2-line block ×14, first 2 shown]
	v_cndmask_b32_e32 v18, v175, v20, vcc
	v_lshlrev_b16_e32 v20, 7, v237
	v_cmp_ne_u16_e32 vcc, 6, v19
	v_cmp_ne_u16_e64 s[74:75], 7, v19
	v_lshlrev_b16_e32 v19, 7, v236
	v_and_b32_e32 v20, 0x3f80, v20
	v_and_b32_e32 v28, 0x7f, v237
	v_cndmask_b32_e32 v76, v175, v22, vcc
	v_cmp_ne_u16_e64 s[72:73], 7, v21
	v_and_b32_e32 v19, 0x3f80, v19
	v_and_b32_e32 v21, 0x7f, v236
	v_add_u16_e32 v20, 0x2000, v20
	v_cmp_ne_u16_e32 vcc, s53, v28
	v_add_u16_e32 v19, 0x2000, v19
	v_cndmask_b32_e32 v20, v125, v20, vcc
	v_cmp_ne_u16_e32 vcc, s53, v21
	v_cndmask_b32_e32 v19, v125, v19, vcc
	v_cmp_ne_u16_e32 vcc, 0, v28
	;; [unrolled: 2-line block ×15, first 2 shown]
	v_cmp_ne_u16_e64 s[78:79], 7, v21
	v_lshlrev_b16_e32 v21, 7, v235
	v_cndmask_b32_e32 v22, v175, v19, vcc
	v_cmp_ne_u16_e64 s[76:77], 7, v28
	v_lshlrev_b16_e32 v19, 7, v234
	v_and_b32_e32 v21, 0x3f80, v21
	v_and_b32_e32 v28, 0x7f, v235
	v_and_b32_e32 v19, 0x3f80, v19
	v_add_u16_e32 v21, 0x2000, v21
	v_cmp_ne_u16_e32 vcc, s53, v28
	v_and_b32_e32 v107, 0x7f, v234
	v_cndmask_b32_e32 v21, v125, v21, vcc
	v_cmp_ne_u16_e64 s[8:9], 0, v28
	v_add_u16_e32 v19, 0x2000, v19
	v_cmp_ne_u16_e64 s[24:25], s53, v107
	v_cmp_ne_u16_e64 s[14:15], 1, v28
	v_cndmask_b32_e64 v19, v125, v19, s[24:25]
	v_cndmask_b32_e64 v21, 0, v21, s[8:9]
	v_cmp_ne_u16_e64 s[8:9], 0, v107
	v_cmp_ne_u16_e64 s[16:17], 2, v28
	v_cndmask_b32_e64 v19, 0, v19, s[8:9]
	v_cndmask_b32_e64 v21, v127, v21, s[14:15]
	;; [unrolled: 4-line block ×5, first 2 shown]
	v_cmp_ne_u16_e64 s[8:9], 4, v107
	v_cmp_ne_u16_e32 vcc, 6, v28
	v_cndmask_b32_e64 v19, v171, v19, s[8:9]
	v_cndmask_b32_e64 v21, v173, v21, s[22:23]
	v_cmp_ne_u16_e64 s[8:9], 5, v107
	v_cmp_ne_u16_e64 s[84:85], 7, v28
	v_cndmask_b32_e64 v19, v173, v19, s[8:9]
	v_cndmask_b32_e32 v28, v175, v21, vcc
	v_cmp_ne_u16_e32 vcc, 6, v107
	v_cndmask_b32_e32 v30, v175, v19, vcc
	v_lshlrev_b16_e32 v19, 7, v233
	v_cmp_ne_u16_e64 s[86:87], 7, v107
	v_and_b32_e32 v107, 0x3f80, v19
	v_and_b32_e32 v21, 0x7f, v233
	.loc	1 236 41                        ; fused_moe_aot.py:236:41
	v_and_b32_e32 v61, 0xffff8000, v61
	v_and_b32_e32 v19, 0xffff8000, v101
	.loc	1 223 20                        ; fused_moe_aot.py:223:20
	v_add_u16_e32 v101, 0x2000, v107
	v_cmp_ne_u16_e32 vcc, s53, v21
	.loc	1 236 41                        ; fused_moe_aot.py:236:41
	v_or_b32_e32 v103, v103, v61
	.loc	1 219 12                        ; fused_moe_aot.py:219:12
	v_and_b32_e32 v61, 0x7f, v220
	.loc	1 223 20                        ; fused_moe_aot.py:223:20
	v_cndmask_b32_e32 v101, v125, v101, vcc
	.loc	1 219 12                        ; fused_moe_aot.py:219:12
	v_cmp_ne_u16_e32 vcc, s53, v61
	v_cmp_ne_u16_e64 s[8:9], 0, v61
	v_cmp_ne_u16_e64 s[14:15], 1, v61
	;; [unrolled: 1-line block ×8, first 2 shown]
	v_lshlrev_b16_e32 v61, 7, v220
	v_and_b32_e32 v61, 0x3f80, v61
	v_add_u16_e32 v61, 0x2000, v61
	v_cndmask_b32_e32 v61, v125, v61, vcc
	v_cndmask_b32_e64 v61, 0, v61, s[8:9]
	v_cndmask_b32_e64 v61, v127, v61, s[14:15]
	v_cndmask_b32_e64 v61, v129, v61, s[16:17]
	.loc	1 236 41                        ; fused_moe_aot.py:236:41
	v_or_b32_e32 v19, v105, v19
	.loc	1 219 12                        ; fused_moe_aot.py:219:12
	v_cndmask_b32_e64 v61, v169, v61, s[18:19]
	.loc	1 236 41                        ; fused_moe_aot.py:236:41
	v_and_b32_e32 v105, 0xffff8000, v221
	.loc	1 219 12                        ; fused_moe_aot.py:219:12
	v_cndmask_b32_e64 v61, v171, v61, s[20:21]
	.loc	1 236 41                        ; fused_moe_aot.py:236:41
	v_or_b32_e32 v105, v55, v105
	.loc	1 223 20                        ; fused_moe_aot.py:223:20
	v_lshlrev_b16_e32 v55, 7, v232
	.loc	1 219 12                        ; fused_moe_aot.py:219:12
	v_cndmask_b32_e64 v61, v173, v61, s[22:23]
	.loc	1 223 20                        ; fused_moe_aot.py:223:20
	v_and_b32_e32 v55, 0x3f80, v55
	v_and_b32_e32 v109, 0x7f, v232
	.loc	1 219 12                        ; fused_moe_aot.py:219:12
	v_cndmask_b32_e64 v61, v175, v61, s[24:25]
	v_lshlrev_b16_e32 v107, 8, v220
	.loc	1 223 20                        ; fused_moe_aot.py:223:20
	v_add_u16_e32 v55, 0x2000, v55
	v_cmp_ne_u16_e32 vcc, s53, v109
	.loc	1 219 12                        ; fused_moe_aot.py:219:12
	v_cndmask_b32_e64 v61, v177, v61, s[26:27]
	.loc	1 236 41                        ; fused_moe_aot.py:236:41
	v_and_b32_e32 v107, 0xffff8000, v107
	.loc	1 223 20                        ; fused_moe_aot.py:223:20
	v_cndmask_b32_e32 v55, v125, v55, vcc
	v_cmp_ne_u16_e32 vcc, 0, v21
	.loc	1 236 41                        ; fused_moe_aot.py:236:41
	v_or_b32_e32 v107, v61, v107
	.loc	1 223 20                        ; fused_moe_aot.py:223:20
	v_cndmask_b32_e32 v61, 0, v101, vcc
	v_cmp_ne_u16_e32 vcc, 0, v109
	v_cndmask_b32_e32 v55, 0, v55, vcc
	v_cmp_ne_u16_e32 vcc, 1, v21
	;; [unrolled: 2-line block ×12, first 2 shown]
	.loc	1 236 41                        ; fused_moe_aot.py:236:41
	v_perm_b32 v221, v103, v19, s54
	.loc	1 223 20                        ; fused_moe_aot.py:223:20
	v_lshlrev_b16_e32 v19, 7, v231
	v_cndmask_b32_e32 v55, v175, v61, vcc
	v_cmp_ne_u16_e32 vcc, 6, v109
	.loc	1 236 41                        ; fused_moe_aot.py:236:41
	v_perm_b32 v220, v107, v105, s54
	.loc	1 223 20                        ; fused_moe_aot.py:223:20
	v_and_b32_e32 v19, 0x3f80, v19
	v_and_b32_e32 v105, 0x7f, v231
	v_cmp_ne_u16_e64 s[48:49], 7, v21
	v_lshlrev_b16_e32 v21, 7, v230
	v_cndmask_b32_e32 v61, v175, v101, vcc
	v_add_u16_e32 v19, 0x2000, v19
	v_cmp_ne_u16_e32 vcc, s53, v105
	v_and_b32_e32 v21, 0x3f80, v21
	v_and_b32_e32 v107, 0x7f, v230
	v_cndmask_b32_e32 v19, v125, v19, vcc
	v_add_u16_e32 v21, 0x2000, v21
	v_cmp_ne_u16_e32 vcc, s53, v107
	v_cndmask_b32_e32 v21, v125, v21, vcc
	v_cmp_ne_u16_e32 vcc, 0, v105
	v_cndmask_b32_e32 v19, 0, v19, vcc
	;; [unrolled: 2-line block ×15, first 2 shown]
	.loc	1 219 12                        ; fused_moe_aot.py:219:12
	v_cndmask_b32_e64 v21, v177, v59, s[12:13]
	.loc	1 236 41                        ; fused_moe_aot.py:236:41
	v_and_b32_e32 v17, 0xffff8000, v17
	.loc	1 219 12                        ; fused_moe_aot.py:219:12
	v_cndmask_b32_e64 v19, v177, v57, s[6:7]
	.loc	1 236 41                        ; fused_moe_aot.py:236:41
	v_or_b32_e32 v21, v21, v17
	.loc	1 223 20                        ; fused_moe_aot.py:223:20
	v_lshlrev_b16_e32 v17, 7, v229
	.loc	1 236 41                        ; fused_moe_aot.py:236:41
	v_and_b32_e32 v57, 0xffff8000, v84
	.loc	1 223 20                        ; fused_moe_aot.py:223:20
	v_and_b32_e32 v17, 0x3f80, v17
	.loc	1 236 41                        ; fused_moe_aot.py:236:41
	v_or_b32_e32 v19, v19, v57
	.loc	1 223 20                        ; fused_moe_aot.py:223:20
	v_and_b32_e32 v59, 0x7f, v229
	v_lshlrev_b16_e32 v57, 7, v228
	v_add_u16_e32 v17, 0x2000, v17
	v_cmp_ne_u16_e32 vcc, s53, v59
	v_and_b32_e32 v57, 0x3f80, v57
	v_and_b32_e32 v84, 0x7f, v228
	v_cndmask_b32_e32 v17, v125, v17, vcc
	v_add_u16_e32 v57, 0x2000, v57
	v_cmp_ne_u16_e32 vcc, s53, v84
	v_cndmask_b32_e32 v57, v125, v57, vcc
	v_cmp_ne_u16_e32 vcc, 0, v59
	v_cndmask_b32_e32 v17, 0, v17, vcc
	;; [unrolled: 2-line block ×11, first 2 shown]
	v_cmp_ne_u16_e32 vcc, 5, v59
	v_cmp_ne_u16_e64 s[44:45], 7, v105
	v_cmp_ne_u16_e64 s[42:43], 7, v107
	v_cndmask_b32_e32 v17, v173, v17, vcc
	v_cmp_ne_u16_e32 vcc, 5, v84
	.loc	1 219 12                        ; fused_moe_aot.py:219:12
	v_cndmask_b32_e64 v44, v177, v44, s[10:11]
	.loc	1 236 41                        ; fused_moe_aot.py:236:41
	v_and_b32_e32 v105, 0xffff8000, v223
	.loc	1 219 12                        ; fused_moe_aot.py:219:12
	v_lshlrev_b16_e32 v107, 8, v222
	.loc	1 223 20                        ; fused_moe_aot.py:223:20
	v_cndmask_b32_e32 v57, v173, v57, vcc
	v_cmp_ne_u16_e32 vcc, 6, v59
	.loc	1 219 12                        ; fused_moe_aot.py:219:12
	v_cndmask_b32_e64 v42, v177, v42, s[94:95]
	.loc	1 236 41                        ; fused_moe_aot.py:236:41
	v_or_b32_e32 v44, v44, v105
	.loc	1 223 20                        ; fused_moe_aot.py:223:20
	v_lshlrev_b16_e32 v105, 7, v201
	.loc	1 236 41                        ; fused_moe_aot.py:236:41
	v_and_b32_e32 v107, 0xffff8000, v107
	.loc	1 223 20                        ; fused_moe_aot.py:223:20
	v_cndmask_b32_e32 v17, v175, v17, vcc
	v_cmp_ne_u16_e32 vcc, 6, v84
	v_and_b32_e32 v105, 0x3f80, v105
	.loc	1 236 41                        ; fused_moe_aot.py:236:41
	v_or_b32_e32 v42, v42, v107
	.loc	1 223 20                        ; fused_moe_aot.py:223:20
	v_and_b32_e32 v107, 0x7f, v201
	.loc	1 236 41                        ; fused_moe_aot.py:236:41
	v_perm_b32 v223, v19, v21, s54
	.loc	1 223 20                        ; fused_moe_aot.py:223:20
	v_lshlrev_b16_e32 v19, 7, v199
	v_cndmask_b32_e32 v57, v175, v57, vcc
	v_add_u16_e32 v105, 0x2000, v105
	v_cmp_ne_u16_e32 vcc, s53, v107
	v_and_b32_e32 v19, 0x3f80, v19
	v_and_b32_e32 v21, 0x7f, v199
	v_cndmask_b32_e32 v105, v125, v105, vcc
	v_add_u16_e32 v19, 0x2000, v19
	v_cmp_ne_u16_e32 vcc, s53, v21
	v_cndmask_b32_e32 v19, v125, v19, vcc
	v_cmp_ne_u16_e32 vcc, 0, v107
	.loc	1 236 41                        ; fused_moe_aot.py:236:41
	v_perm_b32 v222, v42, v44, s54
	.loc	1 223 20                        ; fused_moe_aot.py:223:20
	v_cndmask_b32_e32 v42, 0, v105, vcc
	v_cmp_ne_u16_e32 vcc, 0, v21
	v_cndmask_b32_e32 v19, 0, v19, vcc
	v_cmp_ne_u16_e32 vcc, 1, v107
	;; [unrolled: 2-line block ×13, first 2 shown]
	v_cndmask_b32_e32 v44, v175, v19, vcc
	v_lshlrev_b16_e32 v19, 7, v197
	v_and_b32_e32 v19, 0x3f80, v19
	v_and_b32_e32 v105, 0x7f, v197
	v_add_u16_e32 v19, 0x2000, v19
	v_cmp_ne_u16_e32 vcc, s53, v105
	v_cndmask_b32_e32 v19, v125, v19, vcc
	v_cmp_ne_u16_e32 vcc, 0, v105
	v_cndmask_b32_e32 v19, 0, v19, vcc
	;; [unrolled: 2-line block ×7, first 2 shown]
	v_cmp_ne_u16_e32 vcc, 6, v105
	v_cmp_ne_u16_e64 s[40:41], 7, v59
	v_cndmask_b32_e32 v59, v175, v19, vcc
	v_lshlrev_b16_e32 v19, 7, v195
	v_and_b32_e32 v19, 0x3f80, v19
	v_cmp_ne_u16_e64 s[18:19], 7, v21
	v_and_b32_e32 v21, 0x7f, v195
	v_add_u16_e32 v19, 0x2000, v19
	v_cmp_ne_u16_e32 vcc, s53, v21
	v_cndmask_b32_e32 v19, v125, v19, vcc
	v_cmp_ne_u16_e32 vcc, 0, v21
	v_cndmask_b32_e32 v19, 0, v19, vcc
	;; [unrolled: 2-line block ×7, first 2 shown]
	v_cmp_ne_u16_e32 vcc, 6, v21
	v_cmp_ne_u16_e64 s[94:95], 7, v84
	v_cndmask_b32_e32 v84, v175, v19, vcc
	.loc	1 219 12                        ; fused_moe_aot.py:219:12
	v_cndmask_b32_e64 v19, v177, v38, s[90:91]
	v_cndmask_b32_e64 v38, v177, v46, s[2:3]
	.loc	1 236 41                        ; fused_moe_aot.py:236:41
	v_and_b32_e32 v34, 0xffff8000, v34
	v_or_b32_e32 v34, v38, v34
	.loc	1 223 20                        ; fused_moe_aot.py:223:20
	s_waitcnt lgkmcnt(12)
	v_lshlrev_b16_e32 v38, 7, v193
	v_cmp_ne_u16_e64 s[38:39], 7, v107
	.loc	1 219 12                        ; fused_moe_aot.py:219:12
	v_cndmask_b32_e64 v16, v177, v16, s[4:5]
	.loc	1 223 20                        ; fused_moe_aot.py:223:20
	v_and_b32_e32 v38, 0x3f80, v38
	.loc	1 236 41                        ; fused_moe_aot.py:236:41
	v_and_b32_e32 v32, 0xffff8000, v32
	;; [unrolled: 2-line block ×3, first 2 shown]
	.loc	1 236 41                        ; fused_moe_aot.py:236:41
	v_or_b32_e32 v46, v16, v32
	.loc	1 223 20                        ; fused_moe_aot.py:223:20
	v_add_u16_e32 v16, 0x2000, v38
	v_cmp_ne_u16_e32 vcc, s53, v107
	v_cndmask_b32_e32 v16, v125, v16, vcc
	v_cmp_ne_u16_e32 vcc, 0, v107
	v_cndmask_b32_e32 v16, 0, v16, vcc
	;; [unrolled: 2-line block ×4, first 2 shown]
	v_cmp_ne_u16_e32 vcc, 3, v107
	.loc	1 219 12                        ; fused_moe_aot.py:219:12
	v_cndmask_b32_e64 v36, v177, v36, s[88:89]
	.loc	1 223 20                        ; fused_moe_aot.py:223:20
	v_cndmask_b32_e32 v16, v169, v16, vcc
	v_cmp_ne_u16_e32 vcc, 4, v107
	.loc	1 236 41                        ; fused_moe_aot.py:236:41
	v_and_b32_e32 v38, 0xffff8000, v225
	.loc	1 223 20                        ; fused_moe_aot.py:223:20
	v_cndmask_b32_e32 v16, v171, v16, vcc
	v_cmp_ne_u16_e32 vcc, 5, v107
	.loc	1 219 12                        ; fused_moe_aot.py:219:12
	v_lshlrev_b16_e32 v32, 8, v224
	.loc	1 236 41                        ; fused_moe_aot.py:236:41
	v_or_b32_e32 v36, v36, v38
	.loc	1 223 20                        ; fused_moe_aot.py:223:20
	v_lshlrev_b16_e32 v38, 7, v191
	v_cmp_ne_u16_e64 s[46:47], 7, v109
	v_cndmask_b32_e32 v16, v173, v16, vcc
	v_cmp_ne_u16_e32 vcc, 6, v107
	v_and_b32_e32 v38, 0x3f80, v38
	.loc	1 236 41                        ; fused_moe_aot.py:236:41
	v_and_b32_e32 v32, 0xffff8000, v32
	.loc	1 223 20                        ; fused_moe_aot.py:223:20
	v_and_b32_e32 v109, 0x7f, v191
	v_cndmask_b32_e32 v16, v175, v16, vcc
	.loc	1 236 41                        ; fused_moe_aot.py:236:41
	v_or_b32_e32 v19, v19, v32
	.loc	1 223 20                        ; fused_moe_aot.py:223:20
	v_add_u16_e32 v32, 0x2000, v38
	v_cmp_ne_u16_e32 vcc, s53, v109
	v_cndmask_b32_e32 v32, v125, v32, vcc
	v_cmp_ne_u16_e32 vcc, 0, v109
	v_cndmask_b32_e32 v32, 0, v32, vcc
	;; [unrolled: 2-line block ×6, first 2 shown]
	v_cmp_ne_u16_e32 vcc, 5, v109
	.loc	1 236 41                        ; fused_moe_aot.py:236:41
	v_perm_b32 v224, v19, v36, s54
	.loc	1 223 20                        ; fused_moe_aot.py:223:20
	s_waitcnt lgkmcnt(10)
	v_lshlrev_b16_e32 v19, 7, v189
	v_cndmask_b32_e32 v32, v173, v32, vcc
	v_cmp_ne_u16_e32 vcc, 6, v109
	.loc	1 236 41                        ; fused_moe_aot.py:236:41
	v_perm_b32 v225, v46, v34, s54
	.loc	1 223 20                        ; fused_moe_aot.py:223:20
	v_and_b32_e32 v19, 0x3f80, v19
	v_and_b32_e32 v38, 0x7f, v189
	v_lshlrev_b16_e32 v34, 7, v15
	v_cndmask_b32_e32 v32, v175, v32, vcc
	v_add_u16_e32 v19, 0x2000, v19
	v_cmp_ne_u16_e32 vcc, s53, v38
	v_and_b32_e32 v34, 0x3f80, v34
	v_and_b32_e32 v46, 0x7f, v15
	v_cndmask_b32_e32 v19, v125, v19, vcc
	v_cmp_ne_u16_e64 s[14:15], 7, v21
	v_add_u16_e32 v21, 0x2000, v34
	v_cmp_ne_u16_e32 vcc, s53, v46
	v_cndmask_b32_e32 v21, v125, v21, vcc
	v_cmp_ne_u16_e32 vcc, 0, v38
	v_cndmask_b32_e32 v19, 0, v19, vcc
	;; [unrolled: 2-line block ×15, first 2 shown]
	.loc	1 219 12                        ; fused_moe_aot.py:219:12
	v_cndmask_b32_e64 v21, v177, v24, s[80:81]
	.loc	1 236 41                        ; fused_moe_aot.py:236:41
	v_and_b32_e32 v24, 0xffff8000, v74
	.loc	1 219 12                        ; fused_moe_aot.py:219:12
	v_cndmask_b32_e64 v19, v177, v26, s[82:83]
	.loc	1 236 41                        ; fused_moe_aot.py:236:41
	v_or_b32_e32 v21, v21, v24
	.loc	1 223 20                        ; fused_moe_aot.py:223:20
	s_waitcnt lgkmcnt(8)
	v_lshlrev_b16_e32 v24, 7, v14
	.loc	1 236 41                        ; fused_moe_aot.py:236:41
	v_and_b32_e32 v26, 0xffff8000, v78
	.loc	1 223 20                        ; fused_moe_aot.py:223:20
	v_and_b32_e32 v24, 0x3f80, v24
	.loc	1 236 41                        ; fused_moe_aot.py:236:41
	v_or_b32_e32 v19, v19, v26
	.loc	1 223 20                        ; fused_moe_aot.py:223:20
	v_and_b32_e32 v26, 0x7f, v14
	v_add_u16_e32 v24, 0x2000, v24
	v_cmp_ne_u16_e32 vcc, s53, v26
	.loc	1 219 12                        ; fused_moe_aot.py:219:12
	v_and_b32_e32 v74, 0x7f, v226
	.loc	1 223 20                        ; fused_moe_aot.py:223:20
	v_cndmask_b32_e32 v24, v125, v24, vcc
	.loc	1 219 12                        ; fused_moe_aot.py:219:12
	v_cmp_ne_u16_e32 vcc, s53, v74
	v_cmp_ne_u16_e64 s[20:21], 0, v74
	v_cmp_ne_u16_e64 s[22:23], 1, v74
	;; [unrolled: 1-line block ×8, first 2 shown]
	v_lshlrev_b16_e32 v74, 7, v226
	v_and_b32_e32 v74, 0x3f80, v74
	v_add_u16_e32 v74, 0x2000, v74
	v_cndmask_b32_e32 v74, v125, v74, vcc
	v_cndmask_b32_e64 v74, 0, v74, s[20:21]
	v_cndmask_b32_e64 v74, v127, v74, s[22:23]
	;; [unrolled: 1-line block ×6, first 2 shown]
	.loc	1 223 20                        ; fused_moe_aot.py:223:20
	v_cmp_ne_u16_e64 s[16:17], 7, v105
	.loc	1 219 12                        ; fused_moe_aot.py:219:12
	v_cndmask_b32_e64 v74, v175, v74, s[34:35]
	v_cndmask_b32_e64 v66, v177, v66, s[60:61]
	.loc	1 236 41                        ; fused_moe_aot.py:236:41
	v_and_b32_e32 v78, 0xffff8000, v227
	.loc	1 219 12                        ; fused_moe_aot.py:219:12
	v_lshlrev_b16_e32 v105, 8, v226
	v_cndmask_b32_e64 v74, v177, v74, s[82:83]
	.loc	1 236 41                        ; fused_moe_aot.py:236:41
	v_or_b32_e32 v66, v66, v78
	.loc	1 223 20                        ; fused_moe_aot.py:223:20
	v_lshlrev_b16_e32 v78, 7, v13
	.loc	1 236 41                        ; fused_moe_aot.py:236:41
	v_and_b32_e32 v105, 0xffff8000, v105
	.loc	1 223 20                        ; fused_moe_aot.py:223:20
	v_and_b32_e32 v78, 0x3f80, v78
	.loc	1 236 41                        ; fused_moe_aot.py:236:41
	v_or_b32_e32 v74, v74, v105
	.loc	1 223 20                        ; fused_moe_aot.py:223:20
	v_and_b32_e32 v105, 0x7f, v13
	v_add_u16_e32 v78, 0x2000, v78
	v_cmp_ne_u16_e32 vcc, s53, v105
	v_cndmask_b32_e32 v78, v125, v78, vcc
	v_cmp_ne_u16_e32 vcc, 0, v26
	v_cndmask_b32_e32 v24, 0, v24, vcc
	;; [unrolled: 2-line block ×13, first 2 shown]
	v_cmp_ne_u16_e32 vcc, 6, v26
	.loc	1 236 41                        ; fused_moe_aot.py:236:41
	v_perm_b32 v226, v74, v66, s54
	v_perm_b32 v227, v19, v21, s54
	.loc	1 223 20                        ; fused_moe_aot.py:223:20
	s_waitcnt lgkmcnt(6)
	v_lshlrev_b16_e32 v19, 7, v12
	v_lshlrev_b16_e32 v74, 8, v203
	v_cndmask_b32_e32 v24, v175, v24, vcc
	v_cmp_ne_u16_e32 vcc, 6, v105
	v_and_b32_e32 v19, 0x3f80, v19
	v_and_b32_e32 v21, 0x7f, v12
	v_cndmask_b32_e64 v40, v177, v40, s[92:93]
	v_lshlrev_b16_e32 v66, 7, v11
	.loc	1 236 41                        ; fused_moe_aot.py:236:41
	v_and_b32_e32 v74, 0xffff8000, v74
	.loc	1 223 20                        ; fused_moe_aot.py:223:20
	v_cndmask_b32_e32 v78, v175, v78, vcc
	v_add_u16_e32 v19, 0x2000, v19
	v_cmp_ne_u16_e32 vcc, s53, v21
	v_and_b32_e32 v66, 0x3f80, v66
	.loc	1 236 41                        ; fused_moe_aot.py:236:41
	v_or_b32_e32 v40, v40, v74
	.loc	1 223 20                        ; fused_moe_aot.py:223:20
	v_and_b32_e32 v74, 0x7f, v11
	v_cndmask_b32_e32 v19, v125, v19, vcc
	v_add_u16_e32 v66, 0x2000, v66
	v_cmp_ne_u16_e32 vcc, s53, v74
	v_cndmask_b32_e32 v66, v125, v66, vcc
	v_cmp_ne_u16_e32 vcc, 0, v21
	v_cndmask_b32_e32 v19, 0, v19, vcc
	;; [unrolled: 2-line block ×13, first 2 shown]
	v_cmp_ne_u16_e32 vcc, 6, v21
	v_cmp_ne_u16_e64 s[20:21], 7, v38
	s_waitcnt lgkmcnt(4)
	v_lshlrev_b16_e32 v38, 7, v10
	v_cndmask_b32_e32 v19, v175, v19, vcc
	v_cmp_ne_u16_e32 vcc, 6, v74
	v_and_b32_e32 v38, 0x3f80, v38
	v_cmp_ne_u16_e64 s[22:23], 7, v46
	v_and_b32_e32 v46, 0x7f, v10
	v_cmp_ne_u16_e64 s[24:25], 7, v26
	v_lshlrev_b16_e32 v26, 7, v9
	v_cndmask_b32_e32 v66, v175, v66, vcc
	v_add_u16_e32 v38, 0x2000, v38
	v_cmp_ne_u16_e32 vcc, s53, v46
	v_and_b32_e32 v26, 0x3f80, v26
	v_cmp_ne_u16_e64 s[26:27], 7, v105
	v_and_b32_e32 v105, 0x7f, v9
	v_cndmask_b32_e32 v38, v125, v38, vcc
	v_add_u16_e32 v26, 0x2000, v26
	v_cmp_ne_u16_e32 vcc, s53, v105
	v_cndmask_b32_e32 v26, v125, v26, vcc
	v_cmp_ne_u16_e32 vcc, 0, v46
	v_cndmask_b32_e32 v38, 0, v38, vcc
	;; [unrolled: 2-line block ×13, first 2 shown]
	v_cmp_ne_u16_e32 vcc, 6, v46
	v_cmp_ne_u16_e64 s[28:29], 7, v21
	s_waitcnt lgkmcnt(2)
	v_lshlrev_b16_e32 v21, 7, v187
	v_cmp_ne_u16_e64 s[34:35], 7, v46
	v_lshlrev_b16_e32 v46, 7, v8
	v_cndmask_b32_e32 v38, v175, v38, vcc
	v_cmp_ne_u16_e32 vcc, 6, v105
	v_and_b32_e32 v21, 0x3f80, v21
	v_cmp_ne_u16_e64 s[30:31], 7, v74
	v_and_b32_e32 v74, 0x7f, v187
	v_and_b32_e32 v46, 0x3f80, v46
	v_cmp_ne_u16_e64 s[36:37], 7, v105
	v_and_b32_e32 v105, 0x7f, v8
	v_cndmask_b32_e32 v26, v175, v26, vcc
	v_add_u16_e32 v21, 0x2000, v21
	v_cmp_ne_u16_e32 vcc, s53, v74
	v_add_u16_e32 v46, 0x2000, v46
	v_cmp_ne_u16_e64 s[82:83], s53, v105
	v_cndmask_b32_e32 v21, v125, v21, vcc
	v_cndmask_b32_e64 v46, v125, v46, s[82:83]
	v_cmp_ne_u16_e64 s[82:83], 0, v74
	v_cndmask_b32_e64 v21, 0, v21, s[82:83]
	v_cmp_ne_u16_e64 s[82:83], 0, v105
	;; [unrolled: 2-line block ×15, first 2 shown]
	s_waitcnt lgkmcnt(0)
	v_lshlrev_b16_e32 v74, 7, v185
	v_and_b32_e32 v74, 0x3f80, v74
	v_cmp_ne_u16_e64 s[88:89], 7, v105
	v_and_b32_e32 v105, 0x7f, v185
	v_add_u16_e32 v74, 0x2000, v74
	v_cmp_ne_u16_e64 s[90:91], s53, v105
	v_cndmask_b32_e64 v74, v125, v74, s[90:91]
	v_cmp_ne_u16_e64 s[90:91], 0, v105
	v_cndmask_b32_e64 v74, 0, v74, s[90:91]
	;; [unrolled: 2-line block ×7, first 2 shown]
	v_cmp_ne_u16_e64 s[90:91], 6, v105
	.loc	1 219 12                        ; fused_moe_aot.py:219:12
	v_writelane_b32 v255, s0, 1
	.loc	1 223 20                        ; fused_moe_aot.py:223:20
	v_cndmask_b32_e64 v74, v175, v74, s[90:91]
	v_cmp_ne_u16_e64 s[90:91], 7, v105
	v_and_b32_e32 v105, 0x7f, v183
	.loc	1 219 12                        ; fused_moe_aot.py:219:12
	v_writelane_b32 v255, s1, 2
	.loc	1 223 20                        ; fused_moe_aot.py:223:20
	v_cmp_ne_u16_e32 vcc, s53, v105
	v_cmp_ne_u16_e64 s[0:1], 0, v105
	v_cmp_ne_u16_e64 s[2:3], 1, v105
	;; [unrolled: 1-line block ×8, first 2 shown]
	v_lshlrev_b16_e32 v105, 7, v183
	v_and_b32_e32 v105, 0x3f80, v105
	v_add_u16_e32 v105, 0x2000, v105
	v_cndmask_b32_e32 v105, v125, v105, vcc
	v_cndmask_b32_e64 v105, 0, v105, s[0:1]
	.loc	1 219 12                        ; fused_moe_aot.py:219:12
	v_readlane_b32 s0, v254, 47
	v_readlane_b32 s1, v254, 48
	.loc	1 223 20                        ; fused_moe_aot.py:223:20
	v_cmp_ne_u16_e64 s[80:81], 7, v107
	.loc	1 219 12                        ; fused_moe_aot.py:219:12
	v_cndmask_b32_e64 v107, v177, v4, s[0:1]
	v_readlane_b32 s0, v254, 49
	v_readlane_b32 s1, v254, 50
	.loc	1 223 20                        ; fused_moe_aot.py:223:20
	v_cmp_ne_u16_e64 s[60:61], 7, v109
	.loc	1 219 12                        ; fused_moe_aot.py:219:12
	v_cndmask_b32_e64 v109, v177, v2, s[0:1]
	v_readlane_b32 s0, v254, 51
	v_readlane_b32 s1, v254, 52
	v_cndmask_b32_e64 v111, v177, v7, s[0:1]
	v_readlane_b32 s0, v254, 53
	v_readlane_b32 s1, v254, 54
	;; [unrolled: 3-line block ×6, first 2 shown]
	v_cndmask_b32_e64 v115, v177, v5, s[0:1]
	v_cndmask_b32_e64 v119, v177, v1, s[66:67]
	.loc	1 223 20                        ; fused_moe_aot.py:223:20
	v_lshlrev_b16_e32 v1, 8, v240
	v_lshlrev_b16_e32 v4, 8, v238
	;; [unrolled: 1-line block ×3, first 2 shown]
	.loc	1 219 12                        ; fused_moe_aot.py:219:12
	v_cndmask_b32_e64 v117, v177, v3, s[56:57]
	.loc	1 223 20                        ; fused_moe_aot.py:223:20
	v_cndmask_b32_e64 v3, v177, v80, s[70:71]
	v_cndmask_b32_e64 v6, v177, v18, s[72:73]
	;; [unrolled: 1-line block ×3, first 2 shown]
	.loc	1 236 41                        ; fused_moe_aot.py:236:41
	v_and_b32_e32 v5, 0xffff8000, v5
	v_and_b32_e32 v4, 0xffff8000, v4
	;; [unrolled: 1-line block ×3, first 2 shown]
	v_or_b32_e32 v1, v3, v1
	v_or_b32_e32 v3, v7, v4
	;; [unrolled: 1-line block ×3, first 2 shown]
	.loc	1 223 20                        ; fused_moe_aot.py:223:20
	v_lshlrev_b16_e32 v18, 8, v236
	v_lshlrev_b16_e32 v80, 8, v234
	;; [unrolled: 1-line block ×3, first 2 shown]
	v_cndmask_b32_e64 v235, v177, v17, s[40:41]
	v_cndmask_b32_e64 v236, v177, v16, s[80:81]
	.loc	1 236 41                        ; fused_moe_aot.py:236:41
	v_perm_b32 v17, v4, v3, s54
	v_perm_b32 v16, v1, v40, s54
	.loc	1 223 20                        ; fused_moe_aot.py:223:20
	v_lshlrev_b16_e32 v76, 8, v237
	.loc	1 236 41                        ; fused_moe_aot.py:236:41
	v_and_b32_e32 v0, 0xffff8000, v0
	.loc	1 223 20                        ; fused_moe_aot.py:223:20
	v_cndmask_b32_e64 v20, v177, v20, s[76:77]
	v_cndmask_b32_e64 v22, v177, v22, s[78:79]
	;; [unrolled: 1-line block ×4, first 2 shown]
	.loc	1 236 41                        ; fused_moe_aot.py:236:41
	v_or_b32_e32 v40, v2, v0
	v_and_b32_e32 v0, 0xffff8000, v234
	v_and_b32_e32 v1, 0xffff8000, v80
	;; [unrolled: 1-line block ×4, first 2 shown]
	v_or_b32_e32 v3, v22, v3
	v_or_b32_e32 v2, v20, v2
	;; [unrolled: 1-line block ×4, first 2 shown]
	.loc	1 223 20                        ; fused_moe_aot.py:223:20
	v_lshlrev_b16_e32 v237, 8, v15
	v_lshlrev_b16_e32 v238, 8, v13
	;; [unrolled: 1-line block ×5, first 2 shown]
	v_cndmask_b32_e64 v123, v177, v19, s[28:29]
	v_lshlrev_b16_e32 v48, 8, v9
	v_lshlrev_b16_e32 v82, 8, v10
	;; [unrolled: 1-line block ×3, first 2 shown]
	.loc	1 236 41                        ; fused_moe_aot.py:236:41
	v_perm_b32 v19, v0, v1, s54
	v_perm_b32 v18, v2, v3, s54
	v_mfma_f32_32x32x8f16 v[0:15], v[16:17], v[220:221], 0
	.loc	1 219 12                        ; fused_moe_aot.py:219:12
	v_lshlrev_b16_e32 v241, 8, v241
	.loc	1 236 41                        ; fused_moe_aot.py:236:41
	v_and_b32_e32 v16, 0xffff8000, v241
	v_and_b32_e32 v17, 0xffff8000, v245
	;; [unrolled: 1-line block ×3, first 2 shown]
	.loc	1 223 20                        ; fused_moe_aot.py:223:20
	v_lshlrev_b16_e32 v232, 8, v232
	v_lshlrev_b16_e32 v233, 8, v233
	;; [unrolled: 1-line block ×4, first 2 shown]
	.loc	1 236 41                        ; fused_moe_aot.py:236:41
	v_or_b32_e32 v20, v111, v20
	v_or_b32_e32 v17, v109, v17
	;; [unrolled: 1-line block ×3, first 2 shown]
	.loc	1 223 20                        ; fused_moe_aot.py:223:20
	v_cndmask_b32_e64 v55, v177, v55, s[48:49]
	v_cndmask_b32_e64 v61, v177, v61, s[46:47]
	;; [unrolled: 1-line block ×4, first 2 shown]
	.loc	1 236 41                        ; fused_moe_aot.py:236:41
	v_mfma_f32_32x32x8f16 v[0:15], v[18:19], v[222:223], v[0:15]
	.loc	1 223 20                        ; fused_moe_aot.py:223:20
	v_cndmask_b32_e64 v28, v177, v21, s[82:83]
	.loc	1 236 41                        ; fused_moe_aot.py:236:41
	v_perm_b32 v16, v16, v17, s54
	v_perm_b32 v17, v20, v40, s54
	v_and_b32_e32 v18, 0xffff8000, v231
	v_and_b32_e32 v19, 0xffff8000, v230
	;; [unrolled: 1-line block ×4, first 2 shown]
	v_or_b32_e32 v40, v61, v40
	v_or_b32_e32 v21, v55, v21
	;; [unrolled: 1-line block ×4, first 2 shown]
	v_perm_b32 v19, v18, v19, s54
	v_perm_b32 v18, v21, v40, s54
	.loc	1 223 20                        ; fused_moe_aot.py:223:20
	v_lshlrev_b16_e32 v228, 8, v228
	v_lshlrev_b16_e32 v229, 8, v229
	.loc	1 236 41                        ; fused_moe_aot.py:236:41
	v_mfma_f32_32x32x8f16 v[0:15], v[18:19], v[224:225], v[0:15]
	.loc	1 223 20                        ; fused_moe_aot.py:223:20
	v_lshlrev_b16_e32 v199, 8, v199
	v_lshlrev_b16_e32 v201, 8, v201
	.loc	1 236 41                        ; fused_moe_aot.py:236:41
	v_and_b32_e32 v40, 0xffff8000, v249
	.loc	1 223 20                        ; fused_moe_aot.py:223:20
	v_cndmask_b32_e64 v57, v177, v57, s[94:95]
	v_cndmask_b32_e64 v42, v177, v42, s[38:39]
	;; [unrolled: 1-line block ×3, first 2 shown]
	.loc	1 236 41                        ; fused_moe_aot.py:236:41
	v_or_b32_e32 v40, v58, v40
	v_and_b32_e32 v18, 0xffff8000, v201
	v_and_b32_e32 v19, 0xffff8000, v199
	;; [unrolled: 1-line block ×4, first 2 shown]
	v_or_b32_e32 v57, v57, v61
	v_or_b32_e32 v58, v235, v58
	;; [unrolled: 1-line block ×4, first 2 shown]
	v_perm_b32 v19, v18, v19, s54
	v_perm_b32 v18, v58, v57, s54
	.loc	1 223 20                        ; fused_moe_aot.py:223:20
	v_lshlrev_b16_e32 v195, 8, v195
	v_lshlrev_b16_e32 v197, 8, v197
	.loc	1 236 41                        ; fused_moe_aot.py:236:41
	v_mfma_f32_32x32x8f16 v[0:15], v[18:19], v[226:227], v[0:15]
	.loc	1 223 20                        ; fused_moe_aot.py:223:20
	v_lshlrev_b16_e32 v191, 8, v191
	v_lshlrev_b16_e32 v193, 8, v193
	v_cndmask_b32_e64 v59, v177, v59, s[16:17]
	v_cndmask_b32_e64 v84, v177, v84, s[14:15]
	;; [unrolled: 1-line block ×3, first 2 shown]
	.loc	1 236 41                        ; fused_moe_aot.py:236:41
	v_and_b32_e32 v18, 0xffff8000, v193
	v_and_b32_e32 v19, 0xffff8000, v191
	;; [unrolled: 1-line block ×4, first 2 shown]
	v_or_b32_e32 v44, v84, v44
	v_or_b32_e32 v42, v59, v42
	v_or_b32_e32 v19, v32, v19
	v_or_b32_e32 v18, v236, v18
	v_perm_b32 v19, v18, v19, s54
	v_perm_b32 v18, v42, v44, s54
	.loc	1 223 20                        ; fused_moe_aot.py:223:20
	v_lshlrev_b16_e32 v189, 8, v189
	.loc	1 236 41                        ; fused_moe_aot.py:236:41
	v_and_b32_e32 v42, 0xffff8000, v252
	v_mfma_f32_32x32x8f16 v[0:15], v[18:19], v[16:17], v[0:15]
	.loc	1 223 20                        ; fused_moe_aot.py:223:20
	v_cndmask_b32_e64 v34, v177, v34, s[20:21]
	v_cndmask_b32_e64 v36, v177, v36, s[22:23]
	;; [unrolled: 1-line block ×4, first 2 shown]
	.loc	1 236 41                        ; fused_moe_aot.py:236:41
	v_or_b32_e32 v19, v117, v42
	v_and_b32_e32 v16, 0xffff8000, v239
	v_and_b32_e32 v17, 0xffff8000, v238
	;; [unrolled: 1-line block ×4, first 2 shown]
	v_or_b32_e32 v36, v36, v42
	v_or_b32_e32 v18, v34, v18
	;; [unrolled: 1-line block ×4, first 2 shown]
	v_perm_b32 v17, v16, v17, s54
	v_perm_b32 v16, v18, v36, s54
	.loc	1 219 12                        ; fused_moe_aot.py:219:12
	v_lshlrev_b16_e32 v242, 8, v242
	.loc	1 236 41                        ; fused_moe_aot.py:236:41
	v_and_b32_e32 v20, 0xffff8000, v242
	v_and_b32_e32 v21, 0xffff8000, v247
	v_and_b32_e32 v55, 0xffff8000, v248
	v_or_b32_e32 v55, v115, v55
	v_or_b32_e32 v21, v54, v21
	;; [unrolled: 1-line block ×3, first 2 shown]
	v_perm_b32 v20, v20, v21, s54
	v_perm_b32 v21, v40, v55, s54
	.loc	1 219 12                        ; fused_moe_aot.py:219:12
	v_readlane_b32 s0, v254, 63
	v_readlane_b32 s1, v255, 0
	.loc	1 236 41                        ; fused_moe_aot.py:236:41
	v_mfma_f32_32x32x8f16 v[0:15], v[16:17], v[20:21], v[0:15]
	.loc	1 219 12                        ; fused_moe_aot.py:219:12
	v_cndmask_b32_e64 v62, v177, v62, s[0:1]
	v_readlane_b32 s0, v255, 1
	v_readlane_b32 s1, v255, 2
	v_lshlrev_b16_e32 v243, 8, v243
	v_cndmask_b32_e64 v60, v177, v60, s[0:1]
	.loc	1 236 41                        ; fused_moe_aot.py:236:41
	v_and_b32_e32 v40, 0xffff8000, v243
	v_and_b32_e32 v32, 0xffff8000, v250
	v_or_b32_e32 v18, v60, v32
	v_or_b32_e32 v24, v62, v40
	.loc	1 223 20                        ; fused_moe_aot.py:223:20
	v_cndmask_b32_e64 v66, v177, v66, s[30:31]
	v_cndmask_b32_e64 v38, v177, v38, s[34:35]
	;; [unrolled: 1-line block ×3, first 2 shown]
	.loc	1 236 41                        ; fused_moe_aot.py:236:41
	v_perm_b32 v18, v24, v18, s54
	v_and_b32_e32 v16, 0xffff8000, v82
	v_and_b32_e32 v17, 0xffff8000, v48
	;; [unrolled: 1-line block ×4, first 2 shown]
	v_or_b32_e32 v24, v66, v24
	v_or_b32_e32 v21, v123, v21
	;; [unrolled: 1-line block ×4, first 2 shown]
	v_perm_b32 v17, v16, v17, s54
	v_perm_b32 v16, v21, v24, s54
	.loc	1 219 12                        ; fused_moe_aot.py:219:12
	v_cndmask_b32_e64 v64, v177, v64, s[58:59]
	.loc	1 236 41                        ; fused_moe_aot.py:236:41
	v_and_b32_e32 v44, 0xffff8000, v251
	v_or_b32_e32 v44, v64, v44
	v_perm_b32 v19, v19, v44, s54
	.loc	1 223 20                        ; fused_moe_aot.py:223:20
	v_cndmask_b32_e64 v105, v127, v105, s[2:3]
	v_cndmask_b32_e64 v105, v129, v105, s[4:5]
	.loc	1 236 41                        ; fused_moe_aot.py:236:41
	v_mfma_f32_32x32x8f16 v[0:15], v[16:17], v[18:19], v[0:15]
	.loc	1 223 20                        ; fused_moe_aot.py:223:20
	v_cndmask_b32_e64 v105, v169, v105, s[6:7]
	v_cndmask_b32_e64 v105, v171, v105, s[8:9]
	v_cndmask_b32_e64 v105, v173, v105, s[10:11]
	v_cndmask_b32_e64 v105, v175, v105, s[12:13]
	v_lshlrev_b16_e32 v22, 8, v187
	v_cndmask_b32_e64 v30, v177, v46, s[88:89]
	v_lshlrev_b16_e32 v46, 8, v183
	v_lshlrev_b16_e32 v76, 8, v185
	v_cndmask_b32_e64 v74, v177, v74, s[90:91]
	v_cndmask_b32_e64 v80, v177, v105, s[92:93]
	.loc	1 236 41                        ; fused_moe_aot.py:236:41
	v_and_b32_e32 v16, 0xffff8000, v76
	v_and_b32_e32 v17, 0xffff8000, v46
	;; [unrolled: 1-line block ×4, first 2 shown]
	v_or_b32_e32 v22, v30, v22
	v_or_b32_e32 v18, v28, v18
	;; [unrolled: 1-line block ×4, first 2 shown]
	v_perm_b32 v17, v16, v17, s54
	v_perm_b32 v16, v18, v22, s54
	.loc	1 219 12                        ; fused_moe_aot.py:219:12
	v_lshlrev_b16_e32 v244, 8, v244
	v_cndmask_b32_e64 v68, v177, v68, s[62:63]
	v_cndmask_b32_e64 v70, v177, v70, s[64:65]
	;; [unrolled: 1-line block ×3, first 2 shown]
	.loc	1 236 41                        ; fused_moe_aot.py:236:41
	v_and_b32_e32 v20, 0xffff8000, v244
	v_and_b32_e32 v21, 0xffff8000, v253
	;; [unrolled: 1-line block ×4, first 2 shown]
	v_or_b32_e32 v26, v72, v26
	v_or_b32_e32 v19, v119, v24
	;; [unrolled: 1-line block ×4, first 2 shown]
	v_perm_b32 v18, v20, v18, s54
	v_perm_b32 v19, v19, v26, s54
	.loc	1 234 59                        ; fused_moe_aot.py:234:59
	s_waitcnt vmcnt(16)
	v_mov_b32_e32 v203, v202
	.loc	1 215 22                        ; fused_moe_aot.py:215:22
	v_readlane_b32 s0, v254, 46
	.loc	1 236 41                        ; fused_moe_aot.py:236:41
	v_mfma_f32_32x32x8f16 v[0:15], v[16:17], v[18:19], v[0:15]
	.loc	1 215 22                        ; fused_moe_aot.py:215:22
	s_add_i32 s51, s51, -1
	s_add_i32 s50, s50, 64
	s_sub_i32 s33, s33, 64
	s_cmp_lg_u32 s51, 0
	.loc	1 236 46                        ; fused_moe_aot.py:236:46
	s_nop 14
	v_pk_mul_f32 v[0:1], v[202:203], v[0:1]
	.loc	1 236 31 is_stmt 0              ; fused_moe_aot.py:236:31
	s_waitcnt vmcnt(14)
	v_pk_fma_f32 v[134:135], v[204:205], v[0:1], v[134:135]
	.loc	1 215 22 is_stmt 1              ; fused_moe_aot.py:215:22
	v_mov_b32_e32 v0, s0
	v_readlane_b32 s0, v254, 45
	v_add_co_u32_e32 v132, vcc, s0, v132
	v_addc_co_u32_e32 v133, vcc, v133, v0, vcc
	v_readlane_b32 s0, v254, 44
	v_mov_b32_e32 v0, s0
	v_add_co_u32_e32 v136, vcc, s52, v136
	v_addc_co_u32_e32 v137, vcc, v137, v0, vcc
	v_add_co_u32_e32 v138, vcc, s52, v138
	v_addc_co_u32_e32 v139, vcc, v139, v0, vcc
	v_add_co_u32_e32 v140, vcc, s52, v140
	v_addc_co_u32_e32 v141, vcc, v141, v0, vcc
	v_add_co_u32_e32 v142, vcc, s52, v142
	v_addc_co_u32_e32 v143, vcc, v143, v0, vcc
	v_add_co_u32_e32 v144, vcc, s52, v144
	v_addc_co_u32_e32 v145, vcc, v145, v0, vcc
	v_add_co_u32_e32 v146, vcc, s52, v146
	v_addc_co_u32_e32 v147, vcc, v147, v0, vcc
	v_add_co_u32_e32 v148, vcc, s52, v148
	v_addc_co_u32_e32 v149, vcc, v149, v0, vcc
	v_add_co_u32_e32 v150, vcc, s52, v150
	v_addc_co_u32_e32 v151, vcc, v151, v0, vcc
	v_add_co_u32_e32 v152, vcc, s52, v152
	v_addc_co_u32_e32 v153, vcc, v153, v0, vcc
	v_add_co_u32_e32 v154, vcc, s52, v154
	v_addc_co_u32_e32 v155, vcc, v155, v0, vcc
	v_add_co_u32_e32 v156, vcc, s52, v156
	v_addc_co_u32_e32 v157, vcc, v157, v0, vcc
	v_add_co_u32_e32 v158, vcc, s52, v158
	v_addc_co_u32_e32 v159, vcc, v159, v0, vcc
	v_add_co_u32_e32 v160, vcc, s52, v160
	v_addc_co_u32_e32 v161, vcc, v161, v0, vcc
	v_add_co_u32_e32 v162, vcc, s52, v162
	v_addc_co_u32_e32 v163, vcc, v163, v0, vcc
	v_add_co_u32_e32 v164, vcc, s52, v164
	v_addc_co_u32_e32 v165, vcc, v165, v0, vcc
	.loc	1 236 46                        ; fused_moe_aot.py:236:46
	v_pk_mul_f32 v[2:3], v[202:203], v[2:3]
	v_pk_mul_f32 v[4:5], v[202:203], v[4:5]
	;; [unrolled: 1-line block ×7, first 2 shown]
	.loc	1 215 22                        ; fused_moe_aot.py:215:22
	v_add_co_u32_e32 v166, vcc, s52, v166
	.loc	1 236 31                        ; fused_moe_aot.py:236:31
	s_waitcnt vmcnt(12)
	v_pk_fma_f32 v[130:131], v[206:207], v[2:3], v[130:131]
	s_waitcnt vmcnt(10)
	v_pk_fma_f32 v[112:113], v[208:209], v[4:5], v[112:113]
	;; [unrolled: 2-line block ×7, first 2 shown]
	.loc	1 215 22                        ; fused_moe_aot.py:215:22
	v_addc_co_u32_e32 v167, vcc, v167, v0, vcc
	s_cbranch_scc0 .LBB0_72
.LBB0_5:                                ; =>This Inner Loop Header: Depth=1
	.loc	1 0 22 is_stmt 0                ; fused_moe_aot.py:0:22
	v_accvgpr_read_b32 v0, a32
	.loc	1 220 40 is_stmt 1              ; fused_moe_aot.py:220:40
	v_readlane_b32 s0, v254, 0
	.loc	1 220 58 is_stmt 0              ; fused_moe_aot.py:220:58
	v_cmp_gt_i32_e32 vcc, s33, v0
	.loc	1 220 40                        ; fused_moe_aot.py:220:40
	v_readlane_b32 s1, v254, 1
	s_and_b64 s[0:1], s[0:1], vcc
	v_mov_b32_e32 v0, 0
	.loc	1 219 12 is_stmt 1              ; fused_moe_aot.py:219:12
	s_and_saveexec_b64 s[2:3], s[0:1]
	s_cbranch_execz .LBB0_7
; %bb.6:                                ;   in Loop: Header=BB0_5 Depth=1
	.loc	1 220 66                        ; fused_moe_aot.py:220:66
	v_add_co_u32_e64 v0, s[0:1], v166, v178
	v_addc_co_u32_e64 v1, s[0:1], v167, v51, s[0:1]
	.loc	1 219 12                        ; fused_moe_aot.py:219:12
	global_load_ubyte v0, v[0:1], off
.LBB0_7:                                ;   in Loop: Header=BB0_5 Depth=1
	.loc	1 0 12 is_stmt 0                ; fused_moe_aot.py:0:12
	s_or_b64 exec, exec, s[2:3]
	.loc	1 220 40 is_stmt 1              ; fused_moe_aot.py:220:40
	v_readlane_b32 s0, v254, 2
	v_readlane_b32 s1, v254, 3
	s_and_b64 s[0:1], s[0:1], vcc
	v_mov_b32_e32 v1, 0
	v_mov_b32_e32 v2, 0
	.loc	1 219 12                        ; fused_moe_aot.py:219:12
	s_and_saveexec_b64 s[2:3], s[0:1]
	s_cbranch_execz .LBB0_9
; %bb.8:                                ;   in Loop: Header=BB0_5 Depth=1
	.loc	1 220 66                        ; fused_moe_aot.py:220:66
	v_add_co_u32_e64 v2, s[0:1], v164, v178
	v_addc_co_u32_e64 v3, s[0:1], v165, v51, s[0:1]
	.loc	1 219 12                        ; fused_moe_aot.py:219:12
	global_load_ubyte v2, v[2:3], off
.LBB0_9:                                ;   in Loop: Header=BB0_5 Depth=1
	.loc	1 0 12 is_stmt 0                ; fused_moe_aot.py:0:12
	s_or_b64 exec, exec, s[2:3]
	.loc	1 220 40 is_stmt 1              ; fused_moe_aot.py:220:40
	v_readlane_b32 s0, v254, 4
	v_readlane_b32 s1, v254, 5
	s_and_b64 s[0:1], s[0:1], vcc
	.loc	1 219 12                        ; fused_moe_aot.py:219:12
	s_and_saveexec_b64 s[2:3], s[0:1]
	s_cbranch_execz .LBB0_11
; %bb.10:                               ;   in Loop: Header=BB0_5 Depth=1
	.loc	1 220 66                        ; fused_moe_aot.py:220:66
	v_add_co_u32_e64 v4, s[0:1], v162, v178
	v_addc_co_u32_e64 v5, s[0:1], v163, v51, s[0:1]
	.loc	1 219 12                        ; fused_moe_aot.py:219:12
	global_load_ubyte v1, v[4:5], off
.LBB0_11:                               ;   in Loop: Header=BB0_5 Depth=1
	.loc	1 0 12 is_stmt 0                ; fused_moe_aot.py:0:12
	s_or_b64 exec, exec, s[2:3]
	.loc	1 220 40 is_stmt 1              ; fused_moe_aot.py:220:40
	v_readlane_b32 s0, v254, 6
	v_readlane_b32 s1, v254, 7
	s_and_b64 s[0:1], s[0:1], vcc
	v_mov_b32_e32 v4, 0
	v_mov_b32_e32 v3, 0
	.loc	1 219 12                        ; fused_moe_aot.py:219:12
	s_and_saveexec_b64 s[2:3], s[0:1]
	s_cbranch_execz .LBB0_13
; %bb.12:                               ;   in Loop: Header=BB0_5 Depth=1
	.loc	1 220 66                        ; fused_moe_aot.py:220:66
	v_add_co_u32_e64 v6, s[0:1], v160, v178
	v_addc_co_u32_e64 v7, s[0:1], v161, v51, s[0:1]
	.loc	1 219 12                        ; fused_moe_aot.py:219:12
	global_load_ubyte v3, v[6:7], off
.LBB0_13:                               ;   in Loop: Header=BB0_5 Depth=1
	.loc	1 0 12 is_stmt 0                ; fused_moe_aot.py:0:12
	s_or_b64 exec, exec, s[2:3]
	.loc	1 220 40 is_stmt 1              ; fused_moe_aot.py:220:40
	v_readlane_b32 s0, v254, 8
	v_readlane_b32 s1, v254, 9
	s_and_b64 s[0:1], s[0:1], vcc
	.loc	1 219 12                        ; fused_moe_aot.py:219:12
	s_and_saveexec_b64 s[2:3], s[0:1]
	s_cbranch_execz .LBB0_15
; %bb.14:                               ;   in Loop: Header=BB0_5 Depth=1
	.loc	1 220 66                        ; fused_moe_aot.py:220:66
	v_add_co_u32_e64 v4, s[0:1], v158, v178
	v_addc_co_u32_e64 v5, s[0:1], v159, v51, s[0:1]
	.loc	1 219 12                        ; fused_moe_aot.py:219:12
	global_load_ubyte v4, v[4:5], off
.LBB0_15:                               ;   in Loop: Header=BB0_5 Depth=1
	.loc	1 0 12 is_stmt 0                ; fused_moe_aot.py:0:12
	s_or_b64 exec, exec, s[2:3]
	.loc	1 220 40 is_stmt 1              ; fused_moe_aot.py:220:40
	v_readlane_b32 s0, v254, 10
	v_readlane_b32 s1, v254, 11
	s_and_b64 s[0:1], s[0:1], vcc
	v_mov_b32_e32 v5, 0
	v_mov_b32_e32 v6, 0
	.loc	1 219 12                        ; fused_moe_aot.py:219:12
	s_and_saveexec_b64 s[2:3], s[0:1]
	s_cbranch_execz .LBB0_17
; %bb.16:                               ;   in Loop: Header=BB0_5 Depth=1
	.loc	1 220 66                        ; fused_moe_aot.py:220:66
	v_add_co_u32_e64 v6, s[0:1], v156, v178
	v_addc_co_u32_e64 v7, s[0:1], v157, v51, s[0:1]
	.loc	1 219 12                        ; fused_moe_aot.py:219:12
	global_load_ubyte v6, v[6:7], off
.LBB0_17:                               ;   in Loop: Header=BB0_5 Depth=1
	;; [unrolled: 34-line block ×6, first 2 shown]
	.loc	1 0 12 is_stmt 0                ; fused_moe_aot.py:0:12
	s_or_b64 exec, exec, s[2:3]
	.loc	1 220 40 is_stmt 1              ; fused_moe_aot.py:220:40
	v_readlane_b32 s0, v254, 28
	v_readlane_b32 s1, v254, 29
	s_and_b64 s[0:1], s[0:1], vcc
	.loc	1 219 12                        ; fused_moe_aot.py:219:12
	s_and_saveexec_b64 s[2:3], s[0:1]
	s_cbranch_execz .LBB0_35
; %bb.34:                               ;   in Loop: Header=BB0_5 Depth=1
	.loc	1 220 66                        ; fused_moe_aot.py:220:66
	v_add_co_u32_e64 v16, s[0:1], v138, v178
	v_addc_co_u32_e64 v17, s[0:1], v139, v51, s[0:1]
	.loc	1 219 12                        ; fused_moe_aot.py:219:12
	global_load_ubyte v14, v[16:17], off
.LBB0_35:                               ;   in Loop: Header=BB0_5 Depth=1
	.loc	1 0 12 is_stmt 0                ; fused_moe_aot.py:0:12
	s_or_b64 exec, exec, s[2:3]
	.loc	1 220 40 is_stmt 1              ; fused_moe_aot.py:220:40
	v_readlane_b32 s0, v254, 30
	v_readlane_b32 s1, v254, 31
	s_and_b64 s[2:3], s[0:1], vcc
	v_mov_b32_e32 v8, 0
	v_mov_b32_e32 v16, 0
	.loc	1 219 12                        ; fused_moe_aot.py:219:12
	s_and_saveexec_b64 s[0:1], s[2:3]
	s_cbranch_execz .LBB0_37
; %bb.36:                               ;   in Loop: Header=BB0_5 Depth=1
	.loc	1 220 66                        ; fused_moe_aot.py:220:66
	v_add_co_u32_e32 v16, vcc, v136, v178
	v_addc_co_u32_e32 v17, vcc, v137, v51, vcc
	.loc	1 219 12                        ; fused_moe_aot.py:219:12
	global_load_ubyte v16, v[16:17], off
.LBB0_37:                               ;   in Loop: Header=BB0_5 Depth=1
	.loc	1 0 12 is_stmt 0                ; fused_moe_aot.py:0:12
	s_or_b64 exec, exec, s[0:1]
	.loc	1 219 12                        ; fused_moe_aot.py:219:12
	s_waitcnt lgkmcnt(0)
	s_barrier
	s_waitcnt vmcnt(0)
	ds_write_b8 v65, v0
	ds_write_b8 v65, v4 offset:1024
	ds_write_b8 v65, v9 offset:2048
	;; [unrolled: 1-line block ×15, first 2 shown]
	s_waitcnt lgkmcnt(0)
	s_barrier
	ds_read2_b32 v[6:7], v73 offset1:8
	ds_read2_b32 v[4:5], v75 offset1:8
	ds_read2_b32 v[2:3], v77 offset1:8
	ds_read2_b32 v[0:1], v79 offset1:8
	.loc	1 223 51 is_stmt 1              ; fused_moe_aot.py:223:51
	v_cmp_gt_i32_e32 vcc, s33, v53
	.loc	1 223 20 is_stmt 0              ; fused_moe_aot.py:223:20
	s_and_saveexec_b64 s[0:1], vcc
	s_cbranch_execz .LBB0_39
; %bb.38:                               ;   in Loop: Header=BB0_5 Depth=1
	.loc	1 176 41 is_stmt 1              ; fused_moe_aot.py:176:41
	v_ashrrev_i32_e32 v9, 31, v176
	.loc	1 220 66                        ; fused_moe_aot.py:220:66
	v_add_co_u32_e32 v8, vcc, v132, v176
	v_addc_co_u32_e32 v9, vcc, v133, v9, vcc
	.loc	1 223 20                        ; fused_moe_aot.py:223:20
	global_load_ubyte v8, v[8:9], off
.LBB0_39:                               ;   in Loop: Header=BB0_5 Depth=1
	.loc	1 0 20 is_stmt 0                ; fused_moe_aot.py:0:20
	s_or_b64 exec, exec, s[0:1]
	v_accvgpr_read_b32 v9, a15
	.loc	1 223 51                        ; fused_moe_aot.py:223:51
	v_cmp_gt_i32_e32 vcc, s33, v9
	v_mov_b32_e32 v9, 0
	v_mov_b32_e32 v10, 0
	.loc	1 223 20                        ; fused_moe_aot.py:223:20
	s_and_saveexec_b64 s[0:1], vcc
	s_cbranch_execz .LBB0_41
; %bb.40:                               ;   in Loop: Header=BB0_5 Depth=1
	.loc	1 215 22 is_stmt 1              ; fused_moe_aot.py:215:22
	v_ashrrev_i32_e32 v11, 31, v200
	.loc	1 220 66                        ; fused_moe_aot.py:220:66
	v_add_co_u32_e32 v10, vcc, v132, v200
	v_addc_co_u32_e32 v11, vcc, v133, v11, vcc
	.loc	1 223 20                        ; fused_moe_aot.py:223:20
	global_load_ubyte v10, v[10:11], off
.LBB0_41:                               ;   in Loop: Header=BB0_5 Depth=1
	.loc	1 0 20 is_stmt 0                ; fused_moe_aot.py:0:20
	s_or_b64 exec, exec, s[0:1]
	v_accvgpr_read_b32 v11, a17
	.loc	1 223 51                        ; fused_moe_aot.py:223:51
	v_cmp_gt_i32_e32 vcc, s33, v11
	.loc	1 223 20                        ; fused_moe_aot.py:223:20
	s_and_saveexec_b64 s[0:1], vcc
	s_cbranch_execz .LBB0_43
; %bb.42:                               ;   in Loop: Header=BB0_5 Depth=1
	.loc	1 215 22 is_stmt 1              ; fused_moe_aot.py:215:22
	v_ashrrev_i32_e32 v9, 31, v198
	.loc	1 220 66                        ; fused_moe_aot.py:220:66
	v_add_co_u32_e32 v12, vcc, v132, v198
	v_addc_co_u32_e32 v13, vcc, v133, v9, vcc
	.loc	1 223 20                        ; fused_moe_aot.py:223:20
	global_load_ubyte v9, v[12:13], off
.LBB0_43:                               ;   in Loop: Header=BB0_5 Depth=1
	.loc	1 0 20 is_stmt 0                ; fused_moe_aot.py:0:20
	s_or_b64 exec, exec, s[0:1]
	v_accvgpr_read_b32 v11, a1
	.loc	1 223 51                        ; fused_moe_aot.py:223:51
	v_cmp_gt_i32_e32 vcc, s33, v11
	v_mov_b32_e32 v11, 0
	v_mov_b32_e32 v12, 0
	.loc	1 223 20                        ; fused_moe_aot.py:223:20
	s_and_saveexec_b64 s[0:1], vcc
	s_cbranch_execz .LBB0_45
; %bb.44:                               ;   in Loop: Header=BB0_5 Depth=1
	.loc	1 176 41 is_stmt 1              ; fused_moe_aot.py:176:41
	v_ashrrev_i32_e32 v13, 31, v174
	.loc	1 220 66                        ; fused_moe_aot.py:220:66
	v_add_co_u32_e32 v12, vcc, v132, v174
	v_addc_co_u32_e32 v13, vcc, v133, v13, vcc
	.loc	1 223 20                        ; fused_moe_aot.py:223:20
	global_load_ubyte v12, v[12:13], off
.LBB0_45:                               ;   in Loop: Header=BB0_5 Depth=1
	.loc	1 0 20 is_stmt 0                ; fused_moe_aot.py:0:20
	s_or_b64 exec, exec, s[0:1]
	v_accvgpr_read_b32 v13, a19
	.loc	1 223 51                        ; fused_moe_aot.py:223:51
	v_cmp_gt_i32_e32 vcc, s33, v13
	.loc	1 223 20                        ; fused_moe_aot.py:223:20
	;; [unrolled: 36-line block ×7, first 2 shown]
	s_and_saveexec_b64 s[0:1], vcc
	s_cbranch_execz .LBB0_67
; %bb.66:                               ;   in Loop: Header=BB0_5 Depth=1
	.loc	1 215 22 is_stmt 1              ; fused_moe_aot.py:215:22
	v_ashrrev_i32_e32 v55, 31, v180
	.loc	1 220 66                        ; fused_moe_aot.py:220:66
	v_add_co_u32_e32 v54, vcc, v132, v180
	v_addc_co_u32_e32 v55, vcc, v133, v55, vcc
	.loc	1 223 20                        ; fused_moe_aot.py:223:20
	global_load_ubyte v24, v[54:55], off
.LBB0_67:                               ;   in Loop: Header=BB0_5 Depth=1
	.loc	1 0 20 is_stmt 0                ; fused_moe_aot.py:0:20
	s_or_b64 exec, exec, s[0:1]
	v_accvgpr_read_b32 v19, a7
	.loc	1 223 51                        ; fused_moe_aot.py:223:51
	v_cmp_gt_i32_e32 vcc, s33, v19
	v_mov_b32_e32 v202, 0
	v_mov_b32_e32 v28, 0
	.loc	1 223 20                        ; fused_moe_aot.py:223:20
	s_and_saveexec_b64 s[0:1], vcc
	s_cbranch_execz .LBB0_69
; %bb.68:                               ;   in Loop: Header=BB0_5 Depth=1
	.loc	1 176 41 is_stmt 1              ; fused_moe_aot.py:176:41
	v_ashrrev_i32_e32 v55, 31, v168
	.loc	1 220 66                        ; fused_moe_aot.py:220:66
	v_add_co_u32_e32 v54, vcc, v132, v168
	v_addc_co_u32_e32 v55, vcc, v133, v55, vcc
	.loc	1 223 20                        ; fused_moe_aot.py:223:20
	global_load_ubyte v28, v[54:55], off
.LBB0_69:                               ;   in Loop: Header=BB0_5 Depth=1
	.loc	1 0 20 is_stmt 0                ; fused_moe_aot.py:0:20
	s_or_b64 exec, exec, s[0:1]
	.loc	1 223 20                        ; fused_moe_aot.py:223:20
	s_waitcnt lgkmcnt(0)
	s_barrier
	s_waitcnt vmcnt(0)
	ds_write_b8 v81, v8
	ds_write_b8 v81, v10 offset:256
	ds_write_b8 v81, v9 offset:512
	ds_write_b8 v83, v12
	ds_write_b8 v81, v11 offset:1024
	ds_write_b8 v81, v14 offset:1280
	ds_write_b8 v81, v13 offset:1536
	ds_write_b8 v85, v16
	ds_write_b8 v81, v15 offset:2048
	;; [unrolled: 4-line block ×3, first 2 shown]
	ds_write_b8 v81, v26 offset:3328
	ds_write_b8 v81, v24 offset:3584
	ds_write_b8 v99, v28
	s_waitcnt lgkmcnt(0)
	s_barrier
	ds_read_u8 v203, v63
	ds_read_u8 v240, v63 offset:64
	ds_read_u8 v238, v63 offset:128
	;; [unrolled: 1-line block ×31, first 2 shown]
	.loc	1 230 37 is_stmt 1              ; fused_moe_aot.py:230:37
	s_lshr_b32 s2, s50, 7
	.loc	1 232 20                        ; fused_moe_aot.py:232:20
	s_mov_b64 s[0:1], exec
	v_readlane_b32 s4, v254, 34
	v_readlane_b32 s5, v254, 35
	s_and_b64 s[4:5], s[0:1], s[4:5]
	s_mov_b64 exec, s[4:5]
	s_cbranch_execz .LBB0_4
; %bb.70:                               ;   in Loop: Header=BB0_5 Depth=1
	.loc	1 0 20 is_stmt 0                ; fused_moe_aot.py:0:20
	v_readlane_b32 s4, v254, 39
	v_readlane_b32 s5, v254, 40
	s_mul_i32 s4, s2, s5
	s_ashr_i32 s5, s4, 31
	s_lshl_b64 s[4:5], s[4:5], 2
	v_accvgpr_read_b32 v16, a68
	v_mov_b32_e32 v17, s5
	v_add_co_u32_e32 v16, vcc, s4, v16
	v_accvgpr_read_b32 v19, a9
	v_addc_co_u32_e32 v17, vcc, v19, v17, vcc
	.loc	1 232 20                        ; fused_moe_aot.py:232:20
	global_load_dword v202, v[16:17], off
	v_readlane_b32 s6, v254, 41
	v_readlane_b32 s7, v254, 42
	s_branch .LBB0_4
.LBB0_71:
	.loc	1 0 20                          ; fused_moe_aot.py:0:20
	s_mov_b64 s[0:1], 0
                                        ; implicit-def: $vgpr0_vgpr1
                                        ; implicit-def: $vgpr2
	s_cbranch_execnz .LBB0_104
	s_branch .LBB0_135
.LBB0_72:                               ; %Flow
	v_readlane_b32 s36, v254, 36
	v_readlane_b32 s37, v254, 37
	;; [unrolled: 1-line block ×4, first 2 shown]
	v_accvgpr_read_b32 v32, a0
	v_accvgpr_read_b32 v34, a2
	;; [unrolled: 1-line block ×17, first 2 shown]
.LBB0_73:                               ; %._crit_edge
	v_accvgpr_read_b32 v0, a66
	v_readlane_b32 s10, v254, 32
	.loc	1 284 37 is_stmt 1              ; fused_moe_aot.py:284:37
	v_or_b32_e32 v2, s48, v0
	.loc	1 285 33                        ; fused_moe_aot.py:285:33
	v_mad_i64_i32 v[0:1], s[0:1], v68, s10, 0
	.loc	1 285 21 is_stmt 0              ; fused_moe_aot.py:285:21
	v_lshlrev_b64 v[0:1], 1, v[0:1]
	v_mov_b32_e32 v3, s37
	v_add_co_u32_e32 v0, vcc, s36, v0
	v_addc_co_u32_e32 v1, vcc, v3, v1, vcc
	.loc	1 286 36 is_stmt 1              ; fused_moe_aot.py:286:36
	v_readlane_b32 s0, v254, 34
	.loc	1 286 55 is_stmt 0              ; fused_moe_aot.py:286:55
	v_cmp_gt_i32_e32 vcc, s55, v2
	.loc	1 286 36                        ; fused_moe_aot.py:286:36
	v_readlane_b32 s1, v254, 35
	v_readlane_b32 s11, v254, 33
	s_and_b64 s[2:3], vcc, s[0:1]
	.loc	1 287 21 is_stmt 1              ; fused_moe_aot.py:287:21
	s_and_saveexec_b64 s[0:1], s[2:3]
	s_cbranch_execz .LBB0_75
; %bb.74:
	.loc	1 280 33                        ; fused_moe_aot.py:280:33
	v_bfe_u32 v3, v134, 16, 1
	s_movk_i32 s2, 0x7fff
	v_add3_u32 v3, v134, v3, s2
	v_cmp_o_f32_e32 vcc, v134, v134
	v_mov_b32_e32 v4, 0x7fff
	.loc	1 285 67                        ; fused_moe_aot.py:285:67
	v_mul_lo_u32 v2, v2, s11
	.loc	1 280 33                        ; fused_moe_aot.py:280:33
	v_cndmask_b32_sdwa v4, v4, v3, vcc dst_sel:DWORD dst_unused:UNUSED_PAD src0_sel:DWORD src1_sel:WORD_1
	.loc	1 285 55                        ; fused_moe_aot.py:285:55
	v_ashrrev_i32_e32 v3, 31, v2
	v_lshlrev_b64 v[2:3], 1, v[2:3]
	v_add_co_u32_e32 v2, vcc, v0, v2
	v_addc_co_u32_e32 v3, vcc, v1, v3, vcc
	.loc	1 287 21                        ; fused_moe_aot.py:287:21
	global_store_short v[2:3], v4, off
.LBB0_75:
	.loc	1 0 21 is_stmt 0                ; fused_moe_aot.py:0:21
	s_or_b64 exec, exec, s[0:1]
	v_accvgpr_read_b32 v2, a64
	.loc	1 284 37 is_stmt 1              ; fused_moe_aot.py:284:37
	v_or_b32_e32 v2, s48, v2
	.loc	1 286 36                        ; fused_moe_aot.py:286:36
	v_readlane_b32 s0, v254, 34
	.loc	1 286 55 is_stmt 0              ; fused_moe_aot.py:286:55
	v_cmp_gt_i32_e32 vcc, s55, v2
	.loc	1 286 36                        ; fused_moe_aot.py:286:36
	v_readlane_b32 s1, v254, 35
	s_and_b64 s[2:3], vcc, s[0:1]
	.loc	1 287 21 is_stmt 1              ; fused_moe_aot.py:287:21
	s_and_saveexec_b64 s[0:1], s[2:3]
	s_cbranch_execz .LBB0_77
; %bb.76:
	.loc	1 280 33                        ; fused_moe_aot.py:280:33
	v_bfe_u32 v3, v135, 16, 1
	s_movk_i32 s2, 0x7fff
	v_add3_u32 v3, v135, v3, s2
	v_cmp_o_f32_e32 vcc, v135, v135
	v_mov_b32_e32 v4, 0x7fff
	.loc	1 285 67                        ; fused_moe_aot.py:285:67
	v_mul_lo_u32 v2, v2, s11
	.loc	1 280 33                        ; fused_moe_aot.py:280:33
	v_cndmask_b32_sdwa v4, v4, v3, vcc dst_sel:DWORD dst_unused:UNUSED_PAD src0_sel:DWORD src1_sel:WORD_1
	.loc	1 285 55                        ; fused_moe_aot.py:285:55
	v_ashrrev_i32_e32 v3, 31, v2
	v_lshlrev_b64 v[2:3], 1, v[2:3]
	v_add_co_u32_e32 v2, vcc, v0, v2
	v_addc_co_u32_e32 v3, vcc, v1, v3, vcc
	.loc	1 287 21                        ; fused_moe_aot.py:287:21
	global_store_short v[2:3], v4, off
.LBB0_77:
	.loc	1 0 21 is_stmt 0                ; fused_moe_aot.py:0:21
	s_or_b64 exec, exec, s[0:1]
	v_accvgpr_read_b32 v2, a62
	.loc	1 284 37 is_stmt 1              ; fused_moe_aot.py:284:37
	v_or_b32_e32 v2, s48, v2
	.loc	1 286 36                        ; fused_moe_aot.py:286:36
	v_readlane_b32 s0, v254, 34
	.loc	1 286 55 is_stmt 0              ; fused_moe_aot.py:286:55
	v_cmp_gt_i32_e32 vcc, s55, v2
	.loc	1 286 36                        ; fused_moe_aot.py:286:36
	;; [unrolled: 34-line block ×14, first 2 shown]
	v_readlane_b32 s1, v254, 35
	s_and_b64 s[2:3], vcc, s[0:1]
	.loc	1 287 21 is_stmt 1              ; fused_moe_aot.py:287:21
	s_and_saveexec_b64 s[0:1], s[2:3]
	s_cbranch_execz .LBB0_103
; %bb.102:
	.loc	1 280 33                        ; fused_moe_aot.py:280:33
	v_bfe_u32 v3, v86, 16, 1
	s_movk_i32 s2, 0x7fff
	v_add3_u32 v3, v86, v3, s2
	v_cmp_o_f32_e32 vcc, v86, v86
	v_mov_b32_e32 v4, 0x7fff
	.loc	1 285 67                        ; fused_moe_aot.py:285:67
	v_mul_lo_u32 v2, v2, s11
	.loc	1 280 33                        ; fused_moe_aot.py:280:33
	v_cndmask_b32_sdwa v4, v4, v3, vcc dst_sel:DWORD dst_unused:UNUSED_PAD src0_sel:DWORD src1_sel:WORD_1
	.loc	1 285 55                        ; fused_moe_aot.py:285:55
	v_ashrrev_i32_e32 v3, 31, v2
	v_lshlrev_b64 v[2:3], 1, v[2:3]
	v_add_co_u32_e32 v2, vcc, v0, v2
	v_addc_co_u32_e32 v3, vcc, v1, v3, vcc
	.loc	1 287 21                        ; fused_moe_aot.py:287:21
	global_store_short v[2:3], v4, off
.LBB0_103:
	.loc	1 0 21 is_stmt 0                ; fused_moe_aot.py:0:21
	s_or_b64 exec, exec, s[0:1]
	.loc	1 280 33 is_stmt 1              ; fused_moe_aot.py:280:33
	v_bfe_u32 v2, v87, 16, 1
	s_movk_i32 s0, 0x7fff
	v_add3_u32 v2, v87, v2, s0
	v_cmp_o_f32_e32 vcc, v87, v87
	v_mov_b32_e32 v3, 0x7fff
	v_accvgpr_read_b32 v4, a34
	v_cndmask_b32_sdwa v2, v3, v2, vcc dst_sel:DWORD dst_unused:UNUSED_PAD src0_sel:DWORD src1_sel:WORD_1
	.loc	1 284 37                        ; fused_moe_aot.py:284:37
	v_or_b32_e32 v3, s48, v4
	.loc	1 285 67                        ; fused_moe_aot.py:285:67
	v_mul_lo_u32 v4, v3, s11
	.loc	1 285 55 is_stmt 0              ; fused_moe_aot.py:285:55
	v_ashrrev_i32_e32 v5, 31, v4
	v_lshlrev_b64 v[4:5], 1, v[4:5]
	v_add_co_u32_e32 v0, vcc, v0, v4
	v_addc_co_u32_e32 v1, vcc, v1, v5, vcc
	.loc	1 286 36 is_stmt 1              ; fused_moe_aot.py:286:36
	v_readlane_b32 s0, v254, 34
	.loc	1 286 55 is_stmt 0              ; fused_moe_aot.py:286:55
	v_cmp_gt_i32_e32 vcc, s55, v3
	.loc	1 286 36                        ; fused_moe_aot.py:286:36
	v_readlane_b32 s1, v254, 35
	s_and_b64 s[0:1], vcc, s[0:1]
	s_branch .LBB0_135
.LBB0_104:
	.loc	1 0 36                          ; fused_moe_aot.py:0:36
	v_accvgpr_read_b32 v0, a32
.Ltmp20:
	.loc	1 21 37 is_stmt 1               ; fused_moe_aot.py:21:37 @[ fused_moe_aot.py:163:12 ]
	v_lshl_or_b32 v2, s47, 6, v0
	.loc	1 22 67                         ; fused_moe_aot.py:22:67 @[ fused_moe_aot.py:163:12 ]
	v_mul_lo_u32 v0, v2, s11
	.loc	1 23 36                         ; fused_moe_aot.py:23:36 @[ fused_moe_aot.py:163:12 ]
	v_readlane_b32 s0, v254, 0
	.loc	1 22 55                         ; fused_moe_aot.py:22:55 @[ fused_moe_aot.py:163:12 ]
	v_ashrrev_i32_e32 v1, 31, v0
	.loc	1 23 55                         ; fused_moe_aot.py:23:55 @[ fused_moe_aot.py:163:12 ]
	v_cmp_gt_i32_e32 vcc, s55, v2
	.loc	1 23 36 is_stmt 0               ; fused_moe_aot.py:23:36 @[ fused_moe_aot.py:163:12 ]
	v_readlane_b32 s1, v254, 1
	s_and_b64 s[0:1], vcc, s[0:1]
	v_lshlrev_b64 v[0:1], 1, v[0:1]
	.loc	1 24 21 is_stmt 1               ; fused_moe_aot.py:24:21 @[ fused_moe_aot.py:163:12 ]
	s_and_saveexec_b64 s[2:3], s[0:1]
	s_cbranch_execz .LBB0_106
; %bb.105:
	.loc	1 22 33                         ; fused_moe_aot.py:22:33 @[ fused_moe_aot.py:163:12 ]
	v_mad_i64_i32 v[2:3], s[0:1], v62, s10, 0
	.loc	1 22 21 is_stmt 0               ; fused_moe_aot.py:22:21 @[ fused_moe_aot.py:163:12 ]
	v_lshlrev_b64 v[2:3], 1, v[2:3]
	v_mov_b32_e32 v4, s37
	v_add_co_u32_e64 v2, s[0:1], s36, v2
	v_addc_co_u32_e64 v3, s[0:1], v4, v3, s[0:1]
	.loc	1 22 55                         ; fused_moe_aot.py:22:55 @[ fused_moe_aot.py:163:12 ]
	v_add_co_u32_e64 v2, s[0:1], v2, v0
	v_addc_co_u32_e64 v3, s[0:1], v3, v1, s[0:1]
	v_mov_b32_e32 v4, 0
	.loc	1 24 21 is_stmt 1               ; fused_moe_aot.py:24:21 @[ fused_moe_aot.py:163:12 ]
	global_store_short v[2:3], v4, off
.LBB0_106:
	.loc	1 0 21 is_stmt 0                ; fused_moe_aot.py:0:21
	s_or_b64 exec, exec, s[2:3]
	.loc	1 23 36 is_stmt 1               ; fused_moe_aot.py:23:36 @[ fused_moe_aot.py:163:12 ]
	v_readlane_b32 s0, v254, 2
	v_readlane_b32 s1, v254, 3
	s_and_b64 s[0:1], vcc, s[0:1]
	.loc	1 24 21                         ; fused_moe_aot.py:24:21 @[ fused_moe_aot.py:163:12 ]
	s_and_saveexec_b64 s[2:3], s[0:1]
	s_cbranch_execz .LBB0_108
; %bb.107:
	.loc	1 22 33                         ; fused_moe_aot.py:22:33 @[ fused_moe_aot.py:163:12 ]
	v_mad_i64_i32 v[2:3], s[0:1], v60, s10, 0
	.loc	1 22 21 is_stmt 0               ; fused_moe_aot.py:22:21 @[ fused_moe_aot.py:163:12 ]
	v_lshlrev_b64 v[2:3], 1, v[2:3]
	v_mov_b32_e32 v4, s37
	v_add_co_u32_e64 v2, s[0:1], s36, v2
	v_addc_co_u32_e64 v3, s[0:1], v4, v3, s[0:1]
	.loc	1 22 55                         ; fused_moe_aot.py:22:55 @[ fused_moe_aot.py:163:12 ]
	v_add_co_u32_e64 v2, s[0:1], v2, v0
	v_addc_co_u32_e64 v3, s[0:1], v3, v1, s[0:1]
	v_mov_b32_e32 v4, 0
	.loc	1 24 21 is_stmt 1               ; fused_moe_aot.py:24:21 @[ fused_moe_aot.py:163:12 ]
	global_store_short v[2:3], v4, off
.LBB0_108:
	.loc	1 0 21 is_stmt 0                ; fused_moe_aot.py:0:21
	s_or_b64 exec, exec, s[2:3]
	.loc	1 23 36 is_stmt 1               ; fused_moe_aot.py:23:36 @[ fused_moe_aot.py:163:12 ]
	v_readlane_b32 s0, v254, 4
	v_readlane_b32 s1, v254, 5
	s_and_b64 s[0:1], vcc, s[0:1]
	.loc	1 24 21                         ; fused_moe_aot.py:24:21 @[ fused_moe_aot.py:163:12 ]
	;; [unrolled: 24-line block ×14, first 2 shown]
	s_and_saveexec_b64 s[2:3], s[0:1]
	s_cbranch_execz .LBB0_134
; %bb.133:
	.loc	1 22 33                         ; fused_moe_aot.py:22:33 @[ fused_moe_aot.py:163:12 ]
	v_mad_i64_i32 v[2:3], s[0:1], v34, s10, 0
	.loc	1 22 21 is_stmt 0               ; fused_moe_aot.py:22:21 @[ fused_moe_aot.py:163:12 ]
	v_lshlrev_b64 v[2:3], 1, v[2:3]
	v_mov_b32_e32 v4, s37
	v_add_co_u32_e64 v2, s[0:1], s36, v2
	v_addc_co_u32_e64 v3, s[0:1], v4, v3, s[0:1]
	.loc	1 22 55                         ; fused_moe_aot.py:22:55 @[ fused_moe_aot.py:163:12 ]
	v_add_co_u32_e64 v2, s[0:1], v2, v0
	v_addc_co_u32_e64 v3, s[0:1], v3, v1, s[0:1]
	v_mov_b32_e32 v4, 0
	.loc	1 24 21 is_stmt 1               ; fused_moe_aot.py:24:21 @[ fused_moe_aot.py:163:12 ]
	global_store_short v[2:3], v4, off
.LBB0_134:
	.loc	1 0 21 is_stmt 0                ; fused_moe_aot.py:0:21
	s_or_b64 exec, exec, s[2:3]
	.loc	1 22 33 is_stmt 1               ; fused_moe_aot.py:22:33 @[ fused_moe_aot.py:163:12 ]
	v_mad_i64_i32 v[2:3], s[0:1], v32, s10, 0
	.loc	1 22 21 is_stmt 0               ; fused_moe_aot.py:22:21 @[ fused_moe_aot.py:163:12 ]
	v_lshlrev_b64 v[2:3], 1, v[2:3]
	v_mov_b32_e32 v4, s37
	v_add_co_u32_e64 v2, s[0:1], s36, v2
	v_addc_co_u32_e64 v3, s[0:1], v4, v3, s[0:1]
	.loc	1 22 55                         ; fused_moe_aot.py:22:55 @[ fused_moe_aot.py:163:12 ]
	v_add_co_u32_e64 v0, s[0:1], v2, v0
	v_addc_co_u32_e64 v1, s[0:1], v3, v1, s[0:1]
	.loc	1 23 36 is_stmt 1               ; fused_moe_aot.py:23:36 @[ fused_moe_aot.py:163:12 ]
	v_readlane_b32 s0, v254, 30
	v_readlane_b32 s1, v254, 31
	s_and_b64 s[0:1], vcc, s[0:1]
	v_mov_b32_e32 v2, 0
.LBB0_135:                              ; %Flow391
	.loc	1 0 36 is_stmt 0                ; fused_moe_aot.py:0:36
	s_and_saveexec_b64 s[2:3], s[0:1]
	s_xor_b64 s[2:3], exec, s[2:3]
	s_cbranch_execz .LBB0_137
; %bb.136:
	.loc	1 24 21 is_stmt 1               ; fused_moe_aot.py:24:21 @[ fused_moe_aot.py:163:12 ]
	global_store_short v[0:1], v2, off
.Ltmp21:
.LBB0_137:
	.loc	1 132 8                         ; fused_moe_aot.py:132:8
	s_endpgm
.Ltmp22:
	.section	.rodata,"a",@progbits
	.p2align	6, 0x0
	.amdhsa_kernel fused_moe_kernel
		.amdhsa_group_segment_fixed_size 0
		.amdhsa_private_segment_fixed_size 0
		.amdhsa_kernarg_size 168
		.amdhsa_user_sgpr_count 16
		.amdhsa_user_sgpr_private_segment_buffer 1
		.amdhsa_user_sgpr_dispatch_ptr 0
		.amdhsa_user_sgpr_queue_ptr 0
		.amdhsa_user_sgpr_kernarg_segment_ptr 1
		.amdhsa_user_sgpr_dispatch_id 0
		.amdhsa_user_sgpr_flat_scratch_init 0
		.amdhsa_user_sgpr_kernarg_preload_length 10
		.amdhsa_user_sgpr_kernarg_preload_offset 0
		.amdhsa_user_sgpr_private_segment_size 0
		.amdhsa_uses_dynamic_stack 0
		.amdhsa_system_sgpr_private_segment_wavefront_offset 0
		.amdhsa_system_sgpr_workgroup_id_x 1
		.amdhsa_system_sgpr_workgroup_id_y 0
		.amdhsa_system_sgpr_workgroup_id_z 0
		.amdhsa_system_sgpr_workgroup_info 0
		.amdhsa_system_vgpr_workitem_id 0
		.amdhsa_next_free_vgpr 327
		.amdhsa_next_free_sgpr 96
		.amdhsa_accum_offset 256
		.amdhsa_reserve_vcc 1
		.amdhsa_reserve_flat_scratch 0
		.amdhsa_reserve_xnack_mask 1
		.amdhsa_float_round_mode_32 0
		.amdhsa_float_round_mode_16_64 0
		.amdhsa_float_denorm_mode_32 3
		.amdhsa_float_denorm_mode_16_64 3
		.amdhsa_dx10_clamp 1
		.amdhsa_ieee_mode 1
		.amdhsa_fp16_overflow 0
		.amdhsa_tg_split 0
		.amdhsa_exception_fp_ieee_invalid_op 0
		.amdhsa_exception_fp_denorm_src 0
		.amdhsa_exception_fp_ieee_div_zero 0
		.amdhsa_exception_fp_ieee_overflow 0
		.amdhsa_exception_fp_ieee_underflow 0
		.amdhsa_exception_fp_ieee_inexact 0
		.amdhsa_exception_int_div_zero 0
	.end_amdhsa_kernel
	.text
.Lfunc_end0:
	.size	fused_moe_kernel, .Lfunc_end0-fused_moe_kernel
	.cfi_endproc
                                        ; -- End function
	.set fused_moe_kernel.num_vgpr, 256
	.set fused_moe_kernel.num_agpr, 71
	.set fused_moe_kernel.numbered_sgpr, 96
	.set fused_moe_kernel.num_named_barrier, 0
	.set fused_moe_kernel.private_seg_size, 0
	.set fused_moe_kernel.uses_vcc, 1
	.set fused_moe_kernel.uses_flat_scratch, 0
	.set fused_moe_kernel.has_dyn_sized_stack, 0
	.set fused_moe_kernel.has_recursion, 0
	.set fused_moe_kernel.has_indirect_call, 0
	.section	.AMDGPU.csdata,"",@progbits
; Kernel info:
; codeLenInByte = 21060
; TotalNumSgprs: 100
; NumVgprs: 256
; NumAgprs: 71
; TotalNumVgprs: 327
; ScratchSize: 0
; MemoryBound: 0
; FloatMode: 240
; IeeeMode: 1
; LDSByteSize: 0 bytes/workgroup (compile time only)
; SGPRBlocks: 12
; VGPRBlocks: 40
; NumSGPRsForWavesPerEU: 100
; NumVGPRsForWavesPerEU: 327
; AccumOffset: 256
; Occupancy: 1
; WaveLimiterHint : 1
; COMPUTE_PGM_RSRC2:SCRATCH_EN: 0
; COMPUTE_PGM_RSRC2:USER_SGPR: 16
; COMPUTE_PGM_RSRC2:TRAP_HANDLER: 0
; COMPUTE_PGM_RSRC2:TGID_X_EN: 1
; COMPUTE_PGM_RSRC2:TGID_Y_EN: 0
; COMPUTE_PGM_RSRC2:TGID_Z_EN: 0
; COMPUTE_PGM_RSRC2:TIDIG_COMP_CNT: 0
; COMPUTE_PGM_RSRC3_GFX90A:ACCUM_OFFSET: 63
; COMPUTE_PGM_RSRC3_GFX90A:TG_SPLIT: 0
	.text
	.p2alignl 6, 3212836864
	.fill 256, 4, 3212836864
	.section	.AMDGPU.gpr_maximums,"",@progbits
	.set amdgpu.max_num_vgpr, 0
	.set amdgpu.max_num_agpr, 0
	.set amdgpu.max_num_sgpr, 0
	.set amdgpu.max_num_named_barrier, 0
	.text
	.section	.debug_abbrev,"",@progbits
	.byte	1                               ; Abbreviation Code
	.byte	17                              ; DW_TAG_compile_unit
	.byte	1                               ; DW_CHILDREN_yes
	.byte	37                              ; DW_AT_producer
	.byte	14                              ; DW_FORM_strp
	.byte	19                              ; DW_AT_language
	.byte	5                               ; DW_FORM_data2
	.byte	3                               ; DW_AT_name
	.byte	14                              ; DW_FORM_strp
	.byte	16                              ; DW_AT_stmt_list
	.byte	23                              ; DW_FORM_sec_offset
	.byte	27                              ; DW_AT_comp_dir
	.byte	14                              ; DW_FORM_strp
	.byte	17                              ; DW_AT_low_pc
	.byte	1                               ; DW_FORM_addr
	.byte	18                              ; DW_AT_high_pc
	.byte	6                               ; DW_FORM_data4
	.byte	0                               ; EOM(1)
	.byte	0                               ; EOM(2)
	.byte	2                               ; Abbreviation Code
	.byte	46                              ; DW_TAG_subprogram
	.byte	0                               ; DW_CHILDREN_no
	.byte	3                               ; DW_AT_name
	.byte	14                              ; DW_FORM_strp
	.byte	32                              ; DW_AT_inline
	.byte	11                              ; DW_FORM_data1
	.byte	0                               ; EOM(1)
	.byte	0                               ; EOM(2)
	.byte	3                               ; Abbreviation Code
	.byte	46                              ; DW_TAG_subprogram
	.byte	1                               ; DW_CHILDREN_yes
	.byte	17                              ; DW_AT_low_pc
	.byte	1                               ; DW_FORM_addr
	.byte	18                              ; DW_AT_high_pc
	.byte	6                               ; DW_FORM_data4
	.byte	49                              ; DW_AT_abstract_origin
	.byte	19                              ; DW_FORM_ref4
	.byte	0                               ; EOM(1)
	.byte	0                               ; EOM(2)
	.byte	4                               ; Abbreviation Code
	.byte	29                              ; DW_TAG_inlined_subroutine
	.byte	0                               ; DW_CHILDREN_no
	.byte	49                              ; DW_AT_abstract_origin
	.byte	19                              ; DW_FORM_ref4
	.byte	17                              ; DW_AT_low_pc
	.byte	1                               ; DW_FORM_addr
	.byte	18                              ; DW_AT_high_pc
	.byte	6                               ; DW_FORM_data4
	.byte	88                              ; DW_AT_call_file
	.byte	11                              ; DW_FORM_data1
	.byte	89                              ; DW_AT_call_line
	.byte	11                              ; DW_FORM_data1
	.byte	87                              ; DW_AT_call_column
	.byte	11                              ; DW_FORM_data1
	.byte	0                               ; EOM(1)
	.byte	0                               ; EOM(2)
	.byte	5                               ; Abbreviation Code
	.byte	29                              ; DW_TAG_inlined_subroutine
	.byte	0                               ; DW_CHILDREN_no
	.byte	49                              ; DW_AT_abstract_origin
	.byte	19                              ; DW_FORM_ref4
	.byte	85                              ; DW_AT_ranges
	.byte	23                              ; DW_FORM_sec_offset
	.byte	88                              ; DW_AT_call_file
	.byte	11                              ; DW_FORM_data1
	.byte	89                              ; DW_AT_call_line
	.byte	11                              ; DW_FORM_data1
	.byte	87                              ; DW_AT_call_column
	.byte	11                              ; DW_FORM_data1
	.byte	0                               ; EOM(1)
	.byte	0                               ; EOM(2)
	;; [unrolled: 1-line block ×3, first 2 shown]
	.section	.debug_info,"",@progbits
.Lcu_begin0:
	.long	.Ldebug_info_end0-.Ldebug_info_start0 ; Length of Unit
.Ldebug_info_start0:
	.short	4                               ; DWARF version number
	.long	.debug_abbrev                   ; Offset Into Abbrev. Section
	.byte	8                               ; Address Size (in bytes)
	.byte	1                               ; Abbrev [1] 0xb:0x78 DW_TAG_compile_unit
	.long	.Linfo_string0                  ; DW_AT_producer
	.short	2                               ; DW_AT_language
	.long	.Linfo_string1                  ; DW_AT_name
	.long	.Lline_table_start0             ; DW_AT_stmt_list
	.long	.Linfo_string2                  ; DW_AT_comp_dir
	.quad	.Lfunc_begin0                   ; DW_AT_low_pc
	.long	.Lfunc_end0-.Lfunc_begin0       ; DW_AT_high_pc
	.byte	2                               ; Abbrev [2] 0x2a:0x6 DW_TAG_subprogram
	.long	.Linfo_string3                  ; DW_AT_name
	.byte	1                               ; DW_AT_inline
	.byte	3                               ; Abbrev [3] 0x30:0x52 DW_TAG_subprogram
	.quad	.Lfunc_begin0                   ; DW_AT_low_pc
	.long	.Lfunc_end0-.Lfunc_begin0       ; DW_AT_high_pc
	.long	42                              ; DW_AT_abstract_origin
	.byte	4                               ; Abbrev [4] 0x41:0x14 DW_TAG_inlined_subroutine
	.long	42                              ; DW_AT_abstract_origin
	.quad	.Ltmp2                          ; DW_AT_low_pc
	.long	.Ltmp3-.Ltmp2                   ; DW_AT_high_pc
	.byte	1                               ; DW_AT_call_file
	.byte	115                             ; DW_AT_call_line
	.byte	27                              ; DW_AT_call_column
	.byte	5                               ; Abbrev [5] 0x55:0xc DW_TAG_inlined_subroutine
	.long	42                              ; DW_AT_abstract_origin
	.long	.Ldebug_ranges0                 ; DW_AT_ranges
	.byte	1                               ; DW_AT_call_file
	.byte	114                             ; DW_AT_call_line
	.byte	28                              ; DW_AT_call_column
	.byte	5                               ; Abbrev [5] 0x61:0xc DW_TAG_inlined_subroutine
	.long	42                              ; DW_AT_abstract_origin
	.long	.Ldebug_ranges1                 ; DW_AT_ranges
	.byte	1                               ; DW_AT_call_file
	.byte	215                             ; DW_AT_call_line
	.byte	33                              ; DW_AT_call_column
	.byte	4                               ; Abbrev [4] 0x6d:0x14 DW_TAG_inlined_subroutine
	.long	42                              ; DW_AT_abstract_origin
	.quad	.Ltmp20                         ; DW_AT_low_pc
	.long	.Ltmp21-.Ltmp20                 ; DW_AT_high_pc
	.byte	1                               ; DW_AT_call_file
	.byte	163                             ; DW_AT_call_line
	.byte	12                              ; DW_AT_call_column
	.byte	0                               ; End Of Children Mark
	.byte	0                               ; End Of Children Mark
.Ldebug_info_end0:
	.section	.debug_ranges,"",@progbits
.Ldebug_ranges0:
	.quad	.Ltmp4-.Lfunc_begin0
	.quad	.Ltmp5-.Lfunc_begin0
	;; [unrolled: 1-line block ×6, first 2 shown]
	.quad	0
	.quad	0
.Ldebug_ranges1:
	.quad	.Ltmp10-.Lfunc_begin0
	.quad	.Ltmp11-.Lfunc_begin0
	;; [unrolled: 1-line block ×10, first 2 shown]
	.quad	0
	.quad	0
	.section	.debug_str,"MS",@progbits,1
.Linfo_string0:
	.asciz	"triton"                        ; string offset=0
.Linfo_string1:
	.asciz	"fused_moe_aot.py"              ; string offset=7
.Linfo_string2:
	.asciz	"/root/src/amdgpu-assembly/repos/vllm-project__vllm/triton_aot_kernels" ; string offset=24
.Linfo_string3:
	.asciz	"fused_moe_kernel"              ; string offset=94
	.section	".note.GNU-stack","",@progbits
	.amdgpu_metadata
---
amdhsa.kernels:
  - .agpr_count:     71
    .args:
      - .address_space:  global
        .offset:         0
        .size:           8
        .value_kind:     global_buffer
      - .address_space:  global
        .offset:         8
        .size:           8
        .value_kind:     global_buffer
      - .address_space:  global
        .offset:         16
        .size:           8
        .value_kind:     global_buffer
      - .address_space:  global
        .offset:         24
        .size:           8
        .value_kind:     global_buffer
      - .address_space:  global
        .offset:         32
        .size:           8
        .value_kind:     global_buffer
      - .address_space:  global
        .offset:         40
        .size:           8
        .value_kind:     global_buffer
      - .address_space:  global
        .offset:         48
        .size:           8
        .value_kind:     global_buffer
      - .address_space:  global
        .offset:         56
        .size:           8
        .value_kind:     global_buffer
      - .address_space:  global
        .offset:         64
        .size:           8
        .value_kind:     global_buffer
      - .address_space:  global
        .offset:         72
        .size:           8
        .value_kind:     global_buffer
      - .offset:         80
        .size:           4
        .value_kind:     by_value
      - .offset:         84
        .size:           4
        .value_kind:     by_value
      - .offset:         88
        .size:           4
        .value_kind:     by_value
      - .offset:         92
        .size:           4
        .value_kind:     by_value
      - .offset:         96
        .size:           4
        .value_kind:     by_value
      - .offset:         100
        .size:           4
        .value_kind:     by_value
      - .offset:         104
        .size:           4
        .value_kind:     by_value
      - .offset:         108
        .size:           4
        .value_kind:     by_value
      - .offset:         112
        .size:           4
        .value_kind:     by_value
      - .offset:         116
        .size:           4
        .value_kind:     by_value
      - .offset:         120
        .size:           4
        .value_kind:     by_value
      - .offset:         124
        .size:           4
        .value_kind:     by_value
      - .offset:         128
        .size:           4
        .value_kind:     by_value
      - .offset:         132
        .size:           4
        .value_kind:     by_value
      - .offset:         136
        .size:           4
        .value_kind:     by_value
      - .offset:         140
        .size:           4
        .value_kind:     by_value
      - .offset:         144
        .size:           4
        .value_kind:     by_value
      - .offset:         148
        .size:           4
        .value_kind:     by_value
      - .address_space:  global
        .offset:         152
        .size:           8
        .value_kind:     global_buffer
      - .address_space:  global
        .offset:         160
        .size:           8
        .value_kind:     global_buffer
    .group_segment_fixed_size: 0
    .kernarg_segment_align: 8
    .kernarg_segment_size: 168
    .max_flat_workgroup_size: 256
    .name:           fused_moe_kernel
    .private_segment_fixed_size: 0
    .sgpr_count:     100
    .sgpr_spill_count: 67
    .symbol:         fused_moe_kernel.kd
    .uniform_work_group_size: 1
    .uses_dynamic_stack: false
    .vgpr_count:     327
    .vgpr_spill_count: 0
    .wavefront_size: 64
amdhsa.target:   amdgcn-amd-amdhsa--gfx90a
amdhsa.version:
  - 1
  - 2
...

	.end_amdgpu_metadata
	.section	.debug_line,"",@progbits
.Lline_table_start0:
